;; amdgpu-corpus repo=ROCm/rocFFT kind=compiled arch=gfx1201 opt=O3
	.text
	.amdgcn_target "amdgcn-amd-amdhsa--gfx1201"
	.amdhsa_code_object_version 6
	.protected	bluestein_single_back_len1053_dim1_dp_op_CI_CI ; -- Begin function bluestein_single_back_len1053_dim1_dp_op_CI_CI
	.globl	bluestein_single_back_len1053_dim1_dp_op_CI_CI
	.p2align	8
	.type	bluestein_single_back_len1053_dim1_dp_op_CI_CI,@function
bluestein_single_back_len1053_dim1_dp_op_CI_CI: ; @bluestein_single_back_len1053_dim1_dp_op_CI_CI
; %bb.0:
	s_load_b128 s[8:11], s[0:1], 0x28
	v_mul_u32_u24_e32 v1, 0x231, v0
	s_mov_b32 s2, exec_lo
	v_mov_b32_e32 v6, 0
	s_delay_alu instid0(VALU_DEP_2) | instskip(NEXT) | instid1(VALU_DEP_1)
	v_lshrrev_b32_e32 v1, 16, v1
	v_add_nc_u32_e32 v5, ttmp9, v1
	s_wait_kmcnt 0x0
	s_delay_alu instid0(VALU_DEP_1)
	v_cmpx_gt_u64_e64 s[8:9], v[5:6]
	s_cbranch_execz .LBB0_10
; %bb.1:
	s_load_b128 s[4:7], s[0:1], 0x18
	v_mul_lo_u16 v1, 0x75, v1
                                        ; implicit-def: $vgpr112_vgpr113
	s_delay_alu instid0(VALU_DEP_1) | instskip(NEXT) | instid1(VALU_DEP_1)
	v_sub_nc_u16 v0, v0, v1
	v_and_b32_e32 v124, 0xffff, v0
	s_delay_alu instid0(VALU_DEP_1)
	v_dual_mov_b32 v6, v5 :: v_dual_lshlrev_b32 v255, 4, v124
	scratch_store_b64 off, v[6:7], off      ; 8-byte Folded Spill
	v_add_co_u32 v221, null, 0x75, v124
	s_wait_kmcnt 0x0
	s_load_b128 s[12:15], s[4:5], 0x0
	v_add_co_u32 v178, null, 0xea, v124
	s_delay_alu instid0(VALU_DEP_1)
	v_and_b32_e32 v156, 0xffff, v178
	s_wait_kmcnt 0x0
	v_mad_co_u64_u32 v[1:2], null, s14, v5, 0
	v_mad_co_u64_u32 v[3:4], null, s12, v124, 0
	s_mul_u64 s[2:3], s[12:13], 0x15f0
	s_mul_i32 s4, s13, 0xffffdb70
	s_delay_alu instid0(SALU_CYCLE_1) | instskip(NEXT) | instid1(VALU_DEP_1)
	s_sub_co_i32 s4, s4, s12
	v_mad_co_u64_u32 v[5:6], null, s15, v5, v[2:3]
	s_delay_alu instid0(VALU_DEP_1) | instskip(SKIP_2) | instid1(VALU_DEP_1)
	v_mad_co_u64_u32 v[6:7], null, s13, v124, v[4:5]
	v_mov_b32_e32 v2, v5
	s_mov_b32 s13, 0xbfebb67a
	v_lshlrev_b64_e32 v[1:2], 4, v[1:2]
	s_delay_alu instid0(VALU_DEP_3) | instskip(NEXT) | instid1(VALU_DEP_2)
	v_mov_b32_e32 v4, v6
	v_add_co_u32 v1, vcc_lo, s10, v1
	s_delay_alu instid0(VALU_DEP_2) | instskip(NEXT) | instid1(VALU_DEP_4)
	v_lshlrev_b64_e32 v[3:4], 4, v[3:4]
	v_add_co_ci_u32_e32 v2, vcc_lo, s11, v2, vcc_lo
	s_clause 0x1
	s_load_b128 s[8:11], s[0:1], 0x0
	s_load_b64 s[0:1], s[0:1], 0x38
	s_wait_kmcnt 0x0
	s_clause 0x2
	global_load_b128 v[81:84], v255, s[8:9]
	global_load_b128 v[77:80], v255, s[8:9] offset:1872
	global_load_b128 v[73:76], v255, s[8:9] offset:7488
	v_add_co_u32 v1, vcc_lo, v1, v3
	s_wait_alu 0xfffd
	v_add_co_ci_u32_e32 v2, vcc_lo, v2, v4, vcc_lo
	s_delay_alu instid0(VALU_DEP_2) | instskip(SKIP_1) | instid1(VALU_DEP_2)
	v_add_co_u32 v5, vcc_lo, v1, s2
	s_wait_alu 0xfffd
	v_add_co_ci_u32_e32 v6, vcc_lo, s3, v2, vcc_lo
	s_delay_alu instid0(VALU_DEP_2) | instskip(SKIP_1) | instid1(VALU_DEP_2)
	v_add_co_u32 v13, vcc_lo, v5, s2
	s_wait_alu 0xfffd
	v_add_co_ci_u32_e32 v14, vcc_lo, s3, v6, vcc_lo
	s_delay_alu instid0(VALU_DEP_1) | instskip(NEXT) | instid1(VALU_DEP_1)
	v_mad_co_u64_u32 v[9:10], null, 0xffffdb70, s12, v[13:14]
	v_add_nc_u32_e32 v10, s4, v10
	s_delay_alu instid0(VALU_DEP_2) | instskip(SKIP_1) | instid1(VALU_DEP_2)
	v_add_co_u32 v17, vcc_lo, v9, s2
	s_wait_alu 0xfffd
	v_add_co_ci_u32_e32 v18, vcc_lo, s3, v10, vcc_lo
	s_delay_alu instid0(VALU_DEP_2)
	v_add_co_u32 v21, vcc_lo, v17, s2
	s_clause 0x3
	global_load_b128 v[93:96], v255, s[8:9] offset:11232
	global_load_b128 v[85:88], v255, s[8:9] offset:13104
	;; [unrolled: 1-line block ×4, first 2 shown]
	s_clause 0x2
	global_load_b128 v[1:4], v[1:2], off
	global_load_b128 v[5:8], v[5:6], off
	;; [unrolled: 1-line block ×3, first 2 shown]
	s_wait_alu 0xfffd
	v_add_co_ci_u32_e32 v22, vcc_lo, s3, v18, vcc_lo
	s_clause 0x1
	global_load_b128 v[13:16], v[13:14], off
	global_load_b128 v[17:20], v[17:18], off
	v_mad_co_u64_u32 v[25:26], null, 0xffffdb70, s12, v[21:22]
	global_load_b128 v[21:24], v[21:22], off
	v_add_nc_u32_e32 v26, s4, v26
	v_add_co_u32 v29, vcc_lo, v25, s2
	s_wait_alu 0xfffd
	s_delay_alu instid0(VALU_DEP_2) | instskip(NEXT) | instid1(VALU_DEP_2)
	v_add_co_ci_u32_e32 v30, vcc_lo, s3, v26, vcc_lo
	v_add_co_u32 v33, vcc_lo, v29, s2
	s_wait_alu 0xfffd
	s_delay_alu instid0(VALU_DEP_2)
	v_add_co_ci_u32_e32 v34, vcc_lo, s3, v30, vcc_lo
	global_load_b128 v[25:28], v[25:26], off
	global_load_b128 v[101:104], v255, s[8:9] offset:9360
	global_load_b128 v[29:32], v[29:30], off
	global_load_b128 v[105:108], v255, s[8:9] offset:14976
	global_load_b128 v[33:36], v[33:34], off
	s_load_b128 s[4:7], s[6:7], 0x0
	s_mov_b32 s2, 0xe8584caa
	s_mov_b32 s3, 0x3febb67a
	s_wait_alu 0xfffe
	s_mov_b32 s12, s2
	v_cmp_gt_u16_e32 vcc_lo, 0x51, v0
	s_wait_loadcnt 0x11
	scratch_store_b128 off, v[81:84], off offset:44 ; 16-byte Folded Spill
	s_wait_loadcnt 0x10
	scratch_store_b128 off, v[77:80], off offset:28 ; 16-byte Folded Spill
	;; [unrolled: 2-line block ×7, first 2 shown]
	s_wait_loadcnt 0xa
	v_mul_f64_e32 v[37:38], v[3:4], v[83:84]
	v_mul_f64_e32 v[39:40], v[1:2], v[83:84]
	s_wait_loadcnt 0x8
	v_mul_f64_e32 v[49:50], v[11:12], v[79:80]
	v_mul_f64_e32 v[51:52], v[9:10], v[79:80]
	s_wait_loadcnt 0x7
	v_mul_f64_e32 v[45:46], v[15:16], v[95:96]
	v_mul_f64_e32 v[47:48], v[13:14], v[95:96]
	v_mul_f64_e32 v[41:42], v[7:8], v[99:100]
	v_mul_f64_e32 v[43:44], v[5:6], v[99:100]
	s_wait_loadcnt 0x6
	v_mul_f64_e32 v[53:54], v[19:20], v[75:76]
	v_mul_f64_e32 v[55:56], v[17:18], v[75:76]
	s_wait_loadcnt 0x5
	;; [unrolled: 3-line block ×3, first 2 shown]
	v_mul_f64_e32 v[61:62], v[27:28], v[91:92]
	s_wait_loadcnt 0x3
	scratch_store_b128 off, v[101:104], off offset:124 ; 16-byte Folded Spill
	v_mul_f64_e32 v[63:64], v[25:26], v[91:92]
	s_wait_loadcnt 0x2
	v_mul_f64_e32 v[65:66], v[31:32], v[103:104]
	v_mul_f64_e32 v[67:68], v[29:30], v[103:104]
	s_wait_loadcnt 0x0
	v_mul_f64_e32 v[69:70], v[35:36], v[107:108]
	v_mul_f64_e32 v[71:72], v[33:34], v[107:108]
	scratch_store_b128 off, v[105:108], off offset:140 ; 16-byte Folded Spill
	v_fma_f64 v[1:2], v[1:2], v[81:82], v[37:38]
	v_fma_f64 v[3:4], v[3:4], v[81:82], -v[39:40]
	v_fma_f64 v[9:10], v[9:10], v[77:78], v[49:50]
	v_fma_f64 v[11:12], v[11:12], v[77:78], -v[51:52]
	;; [unrolled: 2-line block ×9, first 2 shown]
	v_mul_u32_u24_e32 v65, 0xaaab, v156
	ds_store_b128 v255, v[1:4]
	ds_store_b128 v255, v[9:12] offset:1872
	ds_store_b128 v255, v[13:16] offset:11232
	;; [unrolled: 1-line block ×8, first 2 shown]
	global_wb scope:SCOPE_SE
	s_wait_storecnt_dscnt 0x0
	s_wait_kmcnt 0x0
	s_barrier_signal -1
	s_barrier_wait -1
	global_inv scope:SCOPE_SE
	ds_load_b128 v[1:4], v255 offset:5616
	ds_load_b128 v[5:8], v255 offset:11232
	;; [unrolled: 1-line block ×7, first 2 shown]
	ds_load_b128 v[29:32], v255
	ds_load_b128 v[33:36], v255 offset:1872
	v_lshrrev_b32_e32 v90, 17, v65
	global_wb scope:SCOPE_SE
	s_wait_dscnt 0x0
	s_barrier_signal -1
	s_barrier_wait -1
	global_inv scope:SCOPE_SE
	v_add_f64_e32 v[37:38], v[1:2], v[5:6]
	v_add_f64_e32 v[39:40], v[3:4], v[7:8]
	;; [unrolled: 1-line block ×7, first 2 shown]
	v_add_f64_e64 v[51:52], v[3:4], -v[7:8]
	v_add_f64_e32 v[3:4], v[31:32], v[3:4]
	v_add_f64_e32 v[53:54], v[33:34], v[13:14]
	;; [unrolled: 1-line block ×5, first 2 shown]
	v_add_f64_e64 v[61:62], v[17:18], -v[21:22]
	v_fma_f64 v[29:30], v[37:38], -0.5, v[29:30]
	v_add_f64_e64 v[37:38], v[1:2], -v[5:6]
	v_fma_f64 v[31:32], v[39:40], -0.5, v[31:32]
	;; [unrolled: 2-line block ×5, first 2 shown]
	v_fma_f64 v[47:48], v[47:48], -0.5, v[27:28]
	v_and_b32_e32 v1, 0xff, v0
	v_and_b32_e32 v2, 0xff, v221
	v_add_f64_e32 v[3:4], v[3:4], v[7:8]
	v_add_f64_e32 v[7:8], v[55:56], v[11:12]
	;; [unrolled: 1-line block ×3, first 2 shown]
	v_mul_lo_u16 v63, 0xab, v1
	v_mul_lo_u16 v64, 0xab, v2
	v_add_f64_e32 v[1:2], v[49:50], v[5:6]
	v_add_f64_e32 v[5:6], v[53:54], v[9:10]
	;; [unrolled: 1-line block ×3, first 2 shown]
	v_lshrrev_b16 v88, 9, v63
	v_lshrrev_b16 v89, 9, v64
	v_fma_f64 v[13:14], v[51:52], s[2:3], v[29:30]
	s_wait_alu 0xfffe
	v_fma_f64 v[17:18], v[51:52], s[12:13], v[29:30]
	v_fma_f64 v[15:16], v[37:38], s[12:13], v[31:32]
	v_fma_f64 v[19:20], v[37:38], s[2:3], v[31:32]
	v_fma_f64 v[21:22], v[39:40], s[2:3], v[33:34]
	v_fma_f64 v[25:26], v[39:40], s[12:13], v[33:34]
	v_fma_f64 v[23:24], v[41:42], s[12:13], v[35:36]
	v_fma_f64 v[27:28], v[41:42], s[2:3], v[35:36]
	v_fma_f64 v[33:34], v[43:44], s[12:13], v[45:46]
	v_fma_f64 v[35:36], v[61:62], s[2:3], v[47:48]
	v_fma_f64 v[29:30], v[43:44], s[2:3], v[45:46]
	v_fma_f64 v[31:32], v[61:62], s[12:13], v[47:48]
	v_mul_lo_u16 v37, v0, 3
	v_mul_lo_u16 v38, v88, 3
	;; [unrolled: 1-line block ×4, first 2 shown]
	s_delay_alu instid0(VALU_DEP_4) | instskip(NEXT) | instid1(VALU_DEP_3)
	v_and_b32_e32 v37, 0xffff, v37
	v_sub_nc_u16 v91, v178, v40
	v_mul_u32_u24_e32 v40, 3, v178
	s_delay_alu instid0(VALU_DEP_3)
	v_lshlrev_b32_e32 v42, 4, v37
	v_sub_nc_u16 v37, v0, v38
	v_sub_nc_u16 v38, v221, v39
	v_mul_u32_u24_e32 v39, 3, v221
	v_lshlrev_b32_e32 v40, 4, v40
	ds_store_b128 v42, v[1:4]
	ds_store_b128 v42, v[13:16] offset:16
	v_and_b32_e32 v104, 0xff, v37
	v_lshlrev_b16 v37, 1, v91
	v_and_b32_e32 v105, 0xff, v38
	v_lshlrev_b32_e32 v41, 4, v39
	scratch_store_b32 off, v42, off offset:180 ; 4-byte Folded Spill
	v_lshlrev_b32_e32 v38, 5, v104
	v_and_b32_e32 v37, 0xffff, v37
	v_lshlrev_b32_e32 v39, 5, v105
	ds_store_b128 v42, v[17:20] offset:32
	ds_store_b128 v41, v[5:8]
	ds_store_b128 v41, v[21:24] offset:16
	scratch_store_b32 off, v41, off offset:176 ; 4-byte Folded Spill
	ds_store_b128 v41, v[25:28] offset:32
	ds_store_b128 v40, v[9:12]
	ds_store_b128 v40, v[29:32] offset:16
	v_lshlrev_b32_e32 v1, 4, v37
	scratch_store_b32 off, v40, off offset:172 ; 4-byte Folded Spill
	ds_store_b128 v40, v[33:36] offset:32
	global_wb scope:SCOPE_SE
	s_wait_storecnt_dscnt 0x0
	s_barrier_signal -1
	s_barrier_wait -1
	global_inv scope:SCOPE_SE
	s_clause 0x5
	global_load_b128 v[56:59], v38, s[10:11]
	global_load_b128 v[52:55], v38, s[10:11] offset:16
	global_load_b128 v[48:51], v39, s[10:11]
	global_load_b128 v[40:43], v39, s[10:11] offset:16
	;; [unrolled: 2-line block ×3, first 2 shown]
	ds_load_b128 v[1:4], v255 offset:5616
	ds_load_b128 v[5:8], v255 offset:11232
	;; [unrolled: 1-line block ×7, first 2 shown]
	s_wait_loadcnt_dscnt 0x304
	v_mul_f64_e32 v[62:63], v[11:12], v[50:51]
	v_mul_f64_e32 v[29:30], v[3:4], v[58:59]
	;; [unrolled: 1-line block ×5, first 2 shown]
	s_wait_loadcnt_dscnt 0x203
	v_mul_f64_e32 v[64:65], v[15:16], v[42:43]
	v_mul_f64_e32 v[66:67], v[9:10], v[50:51]
	;; [unrolled: 1-line block ×3, first 2 shown]
	s_wait_loadcnt_dscnt 0x102
	v_mul_f64_e32 v[70:71], v[19:20], v[46:47]
	s_wait_loadcnt_dscnt 0x1
	v_mul_f64_e32 v[72:73], v[23:24], v[38:39]
	v_mul_f64_e32 v[74:75], v[17:18], v[46:47]
	v_mul_f64_e32 v[76:77], v[21:22], v[38:39]
	v_fma_f64 v[9:10], v[9:10], v[48:49], -v[62:63]
	v_fma_f64 v[29:30], v[1:2], v[56:57], -v[29:30]
	;; [unrolled: 1-line block ×3, first 2 shown]
	v_fma_f64 v[33:34], v[3:4], v[56:57], v[33:34]
	v_fma_f64 v[60:61], v[7:8], v[52:53], v[60:61]
	v_fma_f64 v[13:14], v[13:14], v[40:41], -v[64:65]
	v_fma_f64 v[11:12], v[11:12], v[48:49], v[66:67]
	v_fma_f64 v[15:16], v[15:16], v[40:41], v[68:69]
	v_fma_f64 v[17:18], v[17:18], v[44:45], -v[70:71]
	v_fma_f64 v[21:22], v[21:22], v[36:37], -v[72:73]
	v_fma_f64 v[19:20], v[19:20], v[44:45], v[74:75]
	v_fma_f64 v[23:24], v[23:24], v[36:37], v[76:77]
	ds_load_b128 v[1:4], v255
	ds_load_b128 v[5:8], v255 offset:1872
	s_wait_dscnt 0x0
	v_add_f64_e32 v[78:79], v[5:6], v[9:10]
	v_add_f64_e32 v[74:75], v[1:2], v[29:30]
	;; [unrolled: 1-line block ×3, first 2 shown]
	v_add_f64_e64 v[29:30], v[29:30], -v[31:32]
	v_add_f64_e32 v[64:65], v[33:34], v[60:61]
	v_add_f64_e32 v[66:67], v[9:10], v[13:14]
	v_add_f64_e64 v[76:77], v[33:34], -v[60:61]
	v_add_f64_e32 v[68:69], v[11:12], v[15:16]
	v_add_f64_e32 v[33:34], v[3:4], v[33:34]
	v_add_f64_e32 v[70:71], v[17:18], v[21:22]
	v_add_f64_e32 v[82:83], v[7:8], v[11:12]
	v_add_f64_e32 v[72:73], v[19:20], v[23:24]
	v_add_f64_e32 v[84:85], v[25:26], v[17:18]
	v_add_f64_e32 v[86:87], v[27:28], v[19:20]
	v_add_f64_e64 v[11:12], v[11:12], -v[15:16]
	v_add_f64_e64 v[9:10], v[9:10], -v[13:14]
	v_add_f64_e64 v[19:20], v[19:20], -v[23:24]
	v_add_f64_e64 v[17:18], v[17:18], -v[21:22]
	v_add_f64_e32 v[80:81], v[78:79], v[13:14]
	v_add_f64_e32 v[100:101], v[74:75], v[31:32]
	v_fma_f64 v[1:2], v[62:63], -0.5, v[1:2]
	v_fma_f64 v[3:4], v[64:65], -0.5, v[3:4]
	;; [unrolled: 1-line block ×4, first 2 shown]
	v_add_f64_e32 v[102:103], v[33:34], v[60:61]
	v_fma_f64 v[25:26], v[70:71], -0.5, v[25:26]
	v_add_f64_e32 v[82:83], v[82:83], v[15:16]
	v_fma_f64 v[27:28], v[72:73], -0.5, v[27:28]
	v_add_f64_e32 v[108:109], v[84:85], v[21:22]
	v_add_f64_e32 v[110:111], v[86:87], v[23:24]
                                        ; implicit-def: $vgpr84_vgpr85
	v_fma_f64 v[64:65], v[76:77], s[2:3], v[1:2]
	v_fma_f64 v[76:77], v[76:77], s[12:13], v[1:2]
	;; [unrolled: 1-line block ×12, first 2 shown]
	v_and_b32_e32 v3, 0xffff, v88
	v_and_b32_e32 v4, 0xffff, v89
	v_mad_u16 v5, v90, 9, v91
                                        ; implicit-def: $vgpr88_vgpr89
	s_delay_alu instid0(VALU_DEP_3) | instskip(SKIP_1) | instid1(VALU_DEP_4)
	v_mul_u32_u24_e32 v0, 9, v3
	v_add_co_u32 v3, s2, s8, v255
	v_mul_u32_u24_e32 v1, 9, v4
	s_delay_alu instid0(VALU_DEP_4) | instskip(SKIP_2) | instid1(VALU_DEP_3)
	v_and_b32_e32 v2, 0xffff, v5
	s_wait_alu 0xf1ff
	v_add_co_ci_u32_e64 v4, null, s9, 0, s2
	v_add_lshl_u32 v1, v1, v105, 4
	scratch_store_b64 off, v[3:4], off offset:184 ; 8-byte Folded Spill
	v_add_lshl_u32 v3, v0, v104, 4
	v_lshlrev_b32_e32 v0, 4, v2
	global_wb scope:SCOPE_SE
	s_wait_storecnt 0x0
	s_barrier_signal -1
	s_barrier_wait -1
	global_inv scope:SCOPE_SE
	ds_store_b128 v3, v[100:103]
	ds_store_b128 v3, v[64:67] offset:48
	scratch_store_b32 off, v3, off offset:168 ; 4-byte Folded Spill
	ds_store_b128 v3, v[76:79] offset:96
	ds_store_b128 v1, v[80:83]
	ds_store_b128 v1, v[92:95] offset:48
	scratch_store_b32 off, v1, off offset:164 ; 4-byte Folded Spill
	ds_store_b128 v1, v[96:99] offset:96
	ds_store_b128 v0, v[108:111]
	ds_store_b128 v0, v[116:119] offset:48
	scratch_store_b32 off, v0, off offset:160 ; 4-byte Folded Spill
                                        ; implicit-def: $vgpr104_vgpr105
	ds_store_b128 v0, v[120:123] offset:96
	global_wb scope:SCOPE_SE
	s_wait_storecnt_dscnt 0x0
	s_barrier_signal -1
	s_barrier_wait -1
	global_inv scope:SCOPE_SE
	s_and_saveexec_b32 s2, vcc_lo
	s_cbranch_execz .LBB0_3
; %bb.2:
	ds_load_b128 v[100:103], v255
	ds_load_b128 v[64:67], v255 offset:1296
	ds_load_b128 v[76:79], v255 offset:2592
	;; [unrolled: 1-line block ×12, first 2 shown]
.LBB0_3:
	s_wait_alu 0xfffe
	s_or_b32 exec_lo, exec_lo, s2
	v_and_b32_e32 v0, 0xff, v124
	s_mov_b32 s14, 0x4267c47c
	s_mov_b32 s15, 0xbfddbe06
	;; [unrolled: 1-line block ×4, first 2 shown]
	v_mul_lo_u16 v0, v0, 57
	s_mov_b32 s13, 0x3fec55a7
	s_mov_b32 s17, 0xbfea55e2
	;; [unrolled: 1-line block ×4, first 2 shown]
	v_lshrrev_b16 v222, 9, v0
	s_mov_b32 s20, 0x66966769
	s_mov_b32 s21, 0xbfefc445
	;; [unrolled: 1-line block ×4, first 2 shown]
	v_mul_lo_u16 v0, v222, 9
	s_mov_b32 s26, 0x2ef20147
	s_mov_b32 s27, 0xbfedeba7
	;; [unrolled: 1-line block ×4, first 2 shown]
	v_sub_nc_u16 v0, v124, v0
	s_mov_b32 s46, 0x24c2f84
	s_mov_b32 s47, 0x3fe5384d
	;; [unrolled: 1-line block ×4, first 2 shown]
	v_and_b32_e32 v0, 0xff, v0
	scratch_store_b32 off, v124, off offset:8 ; 4-byte Folded Spill
	s_mov_b32 s24, 0xd0032e0c
	s_mov_b32 s25, 0xbfe7f3cc
	;; [unrolled: 1-line block ×3, first 2 shown]
	scratch_store_b32 off, v0, off offset:156 ; 4-byte Folded Spill
	v_mad_co_u64_u32 v[0:1], null, 0xc0, v0, s[10:11]
	s_mov_b32 s31, 0xbfcea1e5
	s_mov_b32 s28, 0x93053d00
	;; [unrolled: 1-line block ×3, first 2 shown]
	v_and_b32_e32 v157, 0xffff, v222
	s_mov_b32 s37, 0x3fefc445
	s_clause 0x1
	global_load_b128 v[60:63], v[0:1], off offset:96
	global_load_b128 v[68:71], v[0:1], off offset:112
	s_mov_b32 s36, s20
	s_mov_b32 s35, 0x3fddbe06
	s_wait_alu 0xfffe
	s_mov_b32 s34, s14
	s_mov_b32 s39, 0x3fedeba7
	;; [unrolled: 1-line block ×7, first 2 shown]
	s_wait_loadcnt_dscnt 0x10b
	v_mul_f64_e32 v[2:3], v[64:65], v[62:63]
	s_delay_alu instid0(VALU_DEP_1) | instskip(SKIP_1) | instid1(VALU_DEP_1)
	v_fma_f64 v[201:202], v[66:67], v[60:61], v[2:3]
	v_mul_f64_e32 v[2:3], v[66:67], v[62:63]
	v_fma_f64 v[203:204], v[64:65], v[60:61], -v[2:3]
	s_clause 0x1
	global_load_b128 v[64:67], v[0:1], off offset:272
	global_load_b128 v[72:75], v[0:1], off offset:256
	s_wait_loadcnt_dscnt 0x100
	v_mul_f64_e32 v[2:3], v[88:89], v[66:67]
	s_delay_alu instid0(VALU_DEP_1) | instskip(SKIP_1) | instid1(VALU_DEP_2)
	v_fma_f64 v[158:159], v[90:91], v[64:65], v[2:3]
	v_mul_f64_e32 v[2:3], v[90:91], v[66:67]
	v_add_f64_e64 v[130:131], v[201:202], -v[158:159]
	s_delay_alu instid0(VALU_DEP_2) | instskip(SKIP_2) | instid1(VALU_DEP_4)
	v_fma_f64 v[160:161], v[88:89], v[64:65], -v[2:3]
	v_mul_f64_e32 v[2:3], v[78:79], v[70:71]
	v_add_f64_e32 v[144:145], v[201:202], v[158:159]
	v_mul_f64_e32 v[128:129], s[14:15], v[130:131]
	s_delay_alu instid0(VALU_DEP_4) | instskip(NEXT) | instid1(VALU_DEP_4)
	v_add_f64_e32 v[126:127], v[203:204], v[160:161]
	v_fma_f64 v[166:167], v[76:77], v[68:69], -v[2:3]
	v_mul_f64_e32 v[2:3], v[76:77], v[70:71]
	v_add_f64_e64 v[195:196], v[203:204], -v[160:161]
	v_mul_f64_e32 v[199:200], s[16:17], v[130:131]
	v_mul_f64_e32 v[150:151], s[20:21], v[130:131]
	;; [unrolled: 1-line block ×3, first 2 shown]
	v_fma_f64 v[168:169], v[78:79], v[68:69], v[2:3]
	s_wait_loadcnt 0x0
	v_mul_f64_e32 v[2:3], v[84:85], v[74:75]
	v_mul_f64_e32 v[146:147], s[14:15], v[195:196]
	;; [unrolled: 1-line block ×5, first 2 shown]
	v_fma_f64 v[162:163], v[86:87], v[72:73], v[2:3]
	v_mul_f64_e32 v[2:3], v[86:87], v[74:75]
	s_delay_alu instid0(VALU_DEP_2) | instskip(NEXT) | instid1(VALU_DEP_2)
	v_add_f64_e64 v[187:188], v[168:169], -v[162:163]
	v_fma_f64 v[164:165], v[84:85], v[72:73], -v[2:3]
	s_clause 0x1
	global_load_b128 v[76:79], v[0:1], off offset:128
	global_load_b128 v[84:87], v[0:1], off offset:144
	v_add_f64_e32 v[179:180], v[168:169], v[162:163]
	v_mul_f64_e32 v[239:240], s[16:17], v[187:188]
	v_add_f64_e64 v[189:190], v[166:167], -v[164:165]
	v_mul_f64_e32 v[253:254], s[26:27], v[187:188]
	s_delay_alu instid0(VALU_DEP_2) | instskip(NEXT) | instid1(VALU_DEP_1)
	v_mul_f64_e32 v[241:242], s[16:17], v[189:190]
	v_fma_f64 v[4:5], v[179:180], s[2:3], -v[241:242]
	s_wait_loadcnt 0x1
	v_mul_f64_e32 v[2:3], v[82:83], v[78:79]
	s_delay_alu instid0(VALU_DEP_1) | instskip(SKIP_1) | instid1(VALU_DEP_1)
	v_fma_f64 v[170:171], v[80:81], v[76:77], -v[2:3]
	v_mul_f64_e32 v[2:3], v[80:81], v[78:79]
	v_fma_f64 v[172:173], v[82:83], v[76:77], v[2:3]
	s_clause 0x1
	global_load_b128 v[80:83], v[0:1], off offset:240
	global_load_b128 v[88:91], v[0:1], off offset:224
	s_wait_loadcnt 0x1
	v_mul_f64_e32 v[2:3], v[114:115], v[82:83]
	s_delay_alu instid0(VALU_DEP_1) | instskip(SKIP_1) | instid1(VALU_DEP_2)
	v_fma_f64 v[174:175], v[112:113], v[80:81], -v[2:3]
	v_mul_f64_e32 v[2:3], v[112:113], v[82:83]
	v_add_f64_e32 v[183:184], v[170:171], v[174:175]
	s_delay_alu instid0(VALU_DEP_2) | instskip(SKIP_2) | instid1(VALU_DEP_3)
	v_fma_f64 v[6:7], v[114:115], v[80:81], v[2:3]
	v_mul_f64_e32 v[2:3], v[94:95], v[86:87]
	v_add_f64_e64 v[209:210], v[170:171], -v[174:175]
	v_add_f64_e64 v[191:192], v[172:173], -v[6:7]
	s_delay_alu instid0(VALU_DEP_3)
	v_fma_f64 v[12:13], v[92:93], v[84:85], -v[2:3]
	v_mul_f64_e32 v[2:3], v[92:93], v[86:87]
	v_add_f64_e32 v[193:194], v[172:173], v[6:7]
	v_mul_f64_e32 v[245:246], s[20:21], v[209:210]
	v_mul_f64_e32 v[32:33], s[34:35], v[209:210]
	;; [unrolled: 1-line block ×3, first 2 shown]
	v_fma_f64 v[14:15], v[94:95], v[84:85], v[2:3]
	s_wait_loadcnt 0x0
	v_mul_f64_e32 v[2:3], v[106:107], v[90:91]
	s_delay_alu instid0(VALU_DEP_1) | instskip(SKIP_1) | instid1(VALU_DEP_2)
	v_fma_f64 v[8:9], v[104:105], v[88:89], -v[2:3]
	v_mul_f64_e32 v[2:3], v[104:105], v[90:91]
	v_add_f64_e32 v[197:198], v[12:13], v[8:9]
	s_delay_alu instid0(VALU_DEP_2)
	v_fma_f64 v[10:11], v[106:107], v[88:89], v[2:3]
	s_clause 0x1
	global_load_b128 v[92:95], v[0:1], off offset:160
	global_load_b128 v[104:107], v[0:1], off offset:176
	v_add_f64_e64 v[223:224], v[12:13], -v[8:9]
	v_add_f64_e64 v[225:226], v[14:15], -v[10:11]
	v_add_f64_e32 v[205:206], v[14:15], v[10:11]
	s_delay_alu instid0(VALU_DEP_3) | instskip(NEXT) | instid1(VALU_DEP_3)
	v_mul_f64_e32 v[176:177], s[26:27], v[223:224]
	v_mul_f64_e32 v[247:248], s[26:27], v[225:226]
	s_wait_loadcnt 0x1
	v_mul_f64_e32 v[2:3], v[98:99], v[94:95]
	s_delay_alu instid0(VALU_DEP_1) | instskip(SKIP_1) | instid1(VALU_DEP_1)
	v_fma_f64 v[16:17], v[96:97], v[92:93], -v[2:3]
	v_mul_f64_e32 v[2:3], v[96:97], v[94:95]
	v_fma_f64 v[18:19], v[98:99], v[92:93], v[2:3]
	s_clause 0x1
	global_load_b128 v[96:99], v[0:1], off offset:208
	global_load_b128 v[112:115], v[0:1], off offset:192
	s_clause 0x4
	scratch_store_b64 off, v[6:7], off offset:196
	scratch_store_b64 off, v[8:9], off offset:204
	;; [unrolled: 1-line block ×5, first 2 shown]
	v_mul_f64_e32 v[12:13], s[38:39], v[209:210]
	s_wait_loadcnt 0x1
	v_mul_f64_e32 v[0:1], v[122:123], v[98:99]
	s_delay_alu instid0(VALU_DEP_1)
	v_fma_f64 v[20:21], v[120:121], v[96:97], -v[0:1]
	v_mul_f64_e32 v[0:1], v[120:121], v[98:99]
	s_clause 0x1
	scratch_store_b64 off, v[16:17], off offset:236
	scratch_store_b64 off, v[20:21], off offset:252
	v_add_f64_e32 v[211:212], v[16:17], v[20:21]
	v_fma_f64 v[120:121], v[122:123], v[96:97], v[0:1]
	v_mul_f64_e32 v[0:1], v[110:111], v[106:107]
	v_add_f64_e64 v[233:234], v[16:17], -v[20:21]
	scratch_store_b32 off, v157, off offset:192 ; 4-byte Folded Spill
	v_add_f64_e64 v[231:232], v[18:19], -v[120:121]
	v_fma_f64 v[122:123], v[108:109], v[104:105], -v[0:1]
	v_mul_f64_e32 v[0:1], v[108:109], v[106:107]
	v_add_f64_e32 v[219:220], v[18:19], v[120:121]
	v_mul_f64_e32 v[181:182], s[40:41], v[233:234]
	v_mul_f64_e32 v[24:25], s[16:17], v[233:234]
	;; [unrolled: 1-line block ×3, first 2 shown]
	v_fma_f64 v[110:111], v[110:111], v[104:105], v[0:1]
	s_wait_loadcnt 0x0
	v_mul_f64_e32 v[0:1], v[118:119], v[114:115]
	s_delay_alu instid0(VALU_DEP_1) | instskip(SKIP_1) | instid1(VALU_DEP_2)
	v_fma_f64 v[108:109], v[116:117], v[112:113], -v[0:1]
	v_mul_f64_e32 v[0:1], v[116:117], v[114:115]
	v_add_f64_e32 v[215:216], v[122:123], v[108:109]
	s_delay_alu instid0(VALU_DEP_2) | instskip(SKIP_3) | instid1(VALU_DEP_4)
	v_fma_f64 v[116:117], v[118:119], v[112:113], v[0:1]
	v_fma_f64 v[0:1], v[126:127], s[12:13], v[128:129]
	v_add_f64_e32 v[118:119], v[166:167], v[164:165]
	v_add_f64_e64 v[237:238], v[122:123], -v[108:109]
	v_add_f64_e64 v[235:236], v[110:111], -v[116:117]
	s_delay_alu instid0(VALU_DEP_4) | instskip(NEXT) | instid1(VALU_DEP_4)
	v_add_f64_e32 v[0:1], v[100:101], v[0:1]
	v_fma_f64 v[2:3], v[118:119], s[2:3], v[239:240]
	v_add_f64_e32 v[227:228], v[110:111], v[116:117]
	v_mul_f64_e32 v[185:186], s[30:31], v[237:238]
	v_mul_f64_e32 v[10:11], s[34:35], v[237:238]
	;; [unrolled: 1-line block ×3, first 2 shown]
	v_add_f64_e32 v[0:1], v[2:3], v[0:1]
	v_fma_f64 v[2:3], v[144:145], s[12:13], -v[146:147]
	s_delay_alu instid0(VALU_DEP_1) | instskip(NEXT) | instid1(VALU_DEP_1)
	v_add_f64_e32 v[2:3], v[102:103], v[2:3]
	v_add_f64_e32 v[2:3], v[4:5], v[2:3]
	v_fma_f64 v[4:5], v[183:184], s[18:19], v[243:244]
	s_delay_alu instid0(VALU_DEP_1) | instskip(SKIP_1) | instid1(VALU_DEP_1)
	v_add_f64_e32 v[0:1], v[4:5], v[0:1]
	v_fma_f64 v[4:5], v[193:194], s[18:19], -v[245:246]
	v_add_f64_e32 v[2:3], v[4:5], v[2:3]
	v_fma_f64 v[4:5], v[197:198], s[22:23], v[247:248]
	s_delay_alu instid0(VALU_DEP_1) | instskip(SKIP_1) | instid1(VALU_DEP_1)
	v_add_f64_e32 v[0:1], v[4:5], v[0:1]
	v_fma_f64 v[4:5], v[205:206], s[22:23], -v[176:177]
	;; [unrolled: 5-line block ×3, first 2 shown]
	v_add_f64_e32 v[2:3], v[4:5], v[2:3]
	v_fma_f64 v[4:5], v[215:216], s[28:29], v[251:252]
	s_delay_alu instid0(VALU_DEP_1) | instskip(SKIP_2) | instid1(VALU_DEP_2)
	v_add_f64_e32 v[132:133], v[4:5], v[0:1]
	v_fma_f64 v[0:1], v[227:228], s[28:29], -v[185:186]
	v_mul_f64_e32 v[4:5], s[26:27], v[189:190]
	v_add_f64_e32 v[134:135], v[0:1], v[2:3]
	v_fma_f64 v[0:1], v[126:127], s[2:3], v[199:200]
	v_fma_f64 v[2:3], v[118:119], s[22:23], v[253:254]
	scratch_store_b64 off, v[4:5], off offset:276 ; 8-byte Folded Spill
	v_fma_f64 v[4:5], v[179:180], s[22:23], -v[4:5]
	v_add_f64_e32 v[0:1], v[100:101], v[0:1]
	s_delay_alu instid0(VALU_DEP_1) | instskip(SKIP_1) | instid1(VALU_DEP_1)
	v_add_f64_e32 v[0:1], v[2:3], v[0:1]
	v_fma_f64 v[2:3], v[144:145], s[2:3], -v[148:149]
	v_add_f64_e32 v[2:3], v[102:103], v[2:3]
	s_delay_alu instid0(VALU_DEP_1)
	v_add_f64_e32 v[2:3], v[4:5], v[2:3]
	v_mul_f64_e32 v[4:5], s[30:31], v[191:192]
	s_clause 0x1
	scratch_store_b64 off, v[18:19], off offset:244
	scratch_store_b64 off, v[4:5], off offset:260
	v_fma_f64 v[4:5], v[183:184], s[28:29], v[4:5]
	s_delay_alu instid0(VALU_DEP_1) | instskip(SKIP_3) | instid1(VALU_DEP_1)
	v_add_f64_e32 v[0:1], v[4:5], v[0:1]
	v_mul_f64_e32 v[4:5], s[30:31], v[209:210]
	scratch_store_b64 off, v[4:5], off offset:284 ; 8-byte Folded Spill
	v_fma_f64 v[4:5], v[193:194], s[28:29], -v[4:5]
	v_add_f64_e32 v[2:3], v[4:5], v[2:3]
	v_mul_f64_e32 v[4:5], s[46:47], v[225:226]
	scratch_store_b64 off, v[4:5], off offset:268 ; 8-byte Folded Spill
	v_fma_f64 v[4:5], v[197:198], s[24:25], v[4:5]
	s_delay_alu instid0(VALU_DEP_1) | instskip(SKIP_3) | instid1(VALU_DEP_1)
	v_add_f64_e32 v[0:1], v[4:5], v[0:1]
	v_mul_f64_e32 v[4:5], s[46:47], v[223:224]
	scratch_store_b64 off, v[4:5], off offset:308 ; 8-byte Folded Spill
	v_fma_f64 v[4:5], v[205:206], s[24:25], -v[4:5]
	v_add_f64_e32 v[2:3], v[4:5], v[2:3]
	v_mul_f64_e32 v[4:5], s[36:37], v[231:232]
	scratch_store_b64 off, v[4:5], off offset:292 ; 8-byte Folded Spill
	;; [unrolled: 9-line block ×3, first 2 shown]
	v_fma_f64 v[4:5], v[215:216], s[12:13], v[4:5]
	s_delay_alu instid0(VALU_DEP_1) | instskip(SKIP_2) | instid1(VALU_DEP_2)
	v_add_f64_e32 v[136:137], v[4:5], v[0:1]
	v_fma_f64 v[0:1], v[227:228], s[12:13], -v[10:11]
	v_mul_f64_e32 v[4:5], s[30:31], v[189:190]
	v_add_f64_e32 v[138:139], v[0:1], v[2:3]
	v_fma_f64 v[0:1], v[126:127], s[18:19], v[150:151]
	v_mul_f64_e32 v[2:3], s[30:31], v[187:188]
	s_delay_alu instid0(VALU_DEP_4) | instskip(NEXT) | instid1(VALU_DEP_3)
	v_fma_f64 v[6:7], v[179:180], s[28:29], -v[4:5]
	v_add_f64_e32 v[0:1], v[100:101], v[0:1]
	scratch_store_b64 off, v[2:3], off offset:300 ; 8-byte Folded Spill
	v_fma_f64 v[2:3], v[118:119], s[28:29], v[2:3]
	s_delay_alu instid0(VALU_DEP_1) | instskip(SKIP_1) | instid1(VALU_DEP_1)
	v_add_f64_e32 v[2:3], v[2:3], v[0:1]
	v_fma_f64 v[0:1], v[144:145], s[18:19], -v[207:208]
	v_add_f64_e32 v[0:1], v[102:103], v[0:1]
	s_delay_alu instid0(VALU_DEP_1) | instskip(SKIP_1) | instid1(VALU_DEP_1)
	v_add_f64_e32 v[6:7], v[6:7], v[0:1]
	v_mul_f64_e32 v[0:1], s[38:39], v[191:192]
	v_fma_f64 v[8:9], v[183:184], s[22:23], v[0:1]
	s_delay_alu instid0(VALU_DEP_1) | instskip(SKIP_1) | instid1(VALU_DEP_1)
	v_add_f64_e32 v[2:3], v[8:9], v[2:3]
	v_fma_f64 v[8:9], v[193:194], s[22:23], -v[12:13]
	v_add_f64_e32 v[8:9], v[8:9], v[6:7]
	v_mul_f64_e32 v[6:7], s[34:35], v[225:226]
	s_delay_alu instid0(VALU_DEP_1) | instskip(NEXT) | instid1(VALU_DEP_1)
	v_fma_f64 v[14:15], v[197:198], s[12:13], v[6:7]
	v_add_f64_e32 v[2:3], v[14:15], v[2:3]
	v_mul_f64_e32 v[14:15], s[34:35], v[223:224]
	s_delay_alu instid0(VALU_DEP_1) | instskip(NEXT) | instid1(VALU_DEP_1)
	v_fma_f64 v[16:17], v[205:206], s[12:13], -v[14:15]
	v_add_f64_e32 v[16:17], v[16:17], v[8:9]
	v_mul_f64_e32 v[8:9], s[16:17], v[231:232]
	s_delay_alu instid0(VALU_DEP_1) | instskip(NEXT) | instid1(VALU_DEP_1)
	v_fma_f64 v[18:19], v[211:212], s[2:3], v[8:9]
	v_add_f64_e32 v[18:19], v[18:19], v[2:3]
	v_fma_f64 v[2:3], v[219:220], s[2:3], -v[24:25]
	s_delay_alu instid0(VALU_DEP_1) | instskip(SKIP_1) | instid1(VALU_DEP_1)
	v_add_f64_e32 v[16:17], v[2:3], v[16:17]
	v_mul_f64_e32 v[2:3], s[40:41], v[235:236]
	v_fma_f64 v[20:21], v[215:216], s[24:25], v[2:3]
	s_delay_alu instid0(VALU_DEP_1)
	v_add_f64_e32 v[140:141], v[20:21], v[18:19]
	v_mul_f64_e32 v[18:19], s[46:47], v[187:188]
	scratch_store_b64 off, v[2:3], off offset:340 ; 8-byte Folded Spill
	v_mul_f64_e32 v[2:3], s[40:41], v[237:238]
	scratch_store_b64 off, v[18:19], off offset:324 ; 8-byte Folded Spill
	v_fma_f64 v[20:21], v[227:228], s[24:25], -v[2:3]
	s_delay_alu instid0(VALU_DEP_1) | instskip(SKIP_3) | instid1(VALU_DEP_3)
	v_add_f64_e32 v[142:143], v[20:21], v[16:17]
	v_fma_f64 v[16:17], v[126:127], s[22:23], v[213:214]
	v_fma_f64 v[20:21], v[118:119], s[24:25], v[18:19]
	v_mul_f64_e32 v[18:19], s[44:45], v[233:234]
	v_add_f64_e32 v[16:17], v[100:101], v[16:17]
	s_delay_alu instid0(VALU_DEP_1) | instskip(SKIP_1) | instid1(VALU_DEP_1)
	v_add_f64_e32 v[22:23], v[20:21], v[16:17]
	v_fma_f64 v[16:17], v[144:145], s[22:23], -v[217:218]
	v_add_f64_e32 v[20:21], v[102:103], v[16:17]
	v_mul_f64_e32 v[16:17], s[46:47], v[189:190]
	scratch_store_b64 off, v[16:17], off offset:348 ; 8-byte Folded Spill
	v_fma_f64 v[26:27], v[179:180], s[24:25], -v[16:17]
	v_mul_f64_e32 v[16:17], s[34:35], v[191:192]
	global_wb scope:SCOPE_SE
	s_wait_storecnt 0x0
	s_barrier_signal -1
	s_barrier_wait -1
	global_inv scope:SCOPE_SE
	v_add_f64_e32 v[26:27], v[26:27], v[20:21]
	v_fma_f64 v[28:29], v[183:184], s[12:13], v[16:17]
	v_mul_f64_e32 v[20:21], s[42:43], v[237:238]
	s_delay_alu instid0(VALU_DEP_2) | instskip(SKIP_1) | instid1(VALU_DEP_3)
	v_add_f64_e32 v[28:29], v[28:29], v[22:23]
	v_fma_f64 v[22:23], v[193:194], s[12:13], -v[32:33]
	v_fma_f64 v[229:230], v[227:228], s[2:3], -v[20:21]
	s_delay_alu instid0(VALU_DEP_2) | instskip(SKIP_1) | instid1(VALU_DEP_1)
	v_add_f64_e32 v[26:27], v[22:23], v[26:27]
	v_mul_f64_e32 v[22:23], s[20:21], v[225:226]
	v_fma_f64 v[30:31], v[197:198], s[18:19], v[22:23]
	s_delay_alu instid0(VALU_DEP_1) | instskip(SKIP_1) | instid1(VALU_DEP_1)
	v_add_f64_e32 v[28:29], v[30:31], v[28:29]
	v_mul_f64_e32 v[30:31], s[20:21], v[223:224]
	v_fma_f64 v[34:35], v[205:206], s[18:19], -v[30:31]
	s_delay_alu instid0(VALU_DEP_1) | instskip(SKIP_1) | instid1(VALU_DEP_1)
	v_add_f64_e32 v[124:125], v[34:35], v[26:27]
	v_mul_f64_e32 v[26:27], s[44:45], v[231:232]
	v_fma_f64 v[34:35], v[211:212], s[28:29], v[26:27]
	s_delay_alu instid0(VALU_DEP_1) | instskip(SKIP_1) | instid1(VALU_DEP_1)
	v_add_f64_e32 v[152:153], v[34:35], v[28:29]
	v_fma_f64 v[28:29], v[219:220], s[28:29], -v[18:19]
	v_add_f64_e32 v[154:155], v[28:29], v[124:125]
	v_mul_f64_e32 v[28:29], s[42:43], v[235:236]
	s_delay_alu instid0(VALU_DEP_2) | instskip(NEXT) | instid1(VALU_DEP_2)
	v_add_f64_e32 v[154:155], v[229:230], v[154:155]
	v_fma_f64 v[124:125], v[215:216], s[2:3], v[28:29]
	s_delay_alu instid0(VALU_DEP_1)
	v_add_f64_e32 v[152:153], v[124:125], v[152:153]
	s_and_saveexec_b32 s33, vcc_lo
	s_cbranch_execz .LBB0_5
; %bb.4:
	v_mul_f64_e32 v[229:230], s[28:29], v[144:145]
	v_mov_b32_e32 v222, v156
	v_mul_f64_e32 v[156:157], s[24:25], v[144:145]
	s_clause 0x1
	scratch_store_b64 off, v[164:165], off offset:356
	scratch_store_b64 off, v[158:159], off offset:364
	v_add_f64_e32 v[34:35], v[102:103], v[201:202]
	scratch_store_b64 off, v[160:161], off offset:372 ; 8-byte Folded Spill
	v_dual_mov_b32 v124, v162 :: v_dual_mov_b32 v125, v163
	v_mul_f64_e32 v[162:163], s[18:19], v[227:228]
	v_fma_f64 v[164:165], v[195:196], s[44:45], v[229:230]
	v_fma_f64 v[229:230], v[195:196], s[30:31], v[229:230]
	;; [unrolled: 1-line block ×4, first 2 shown]
	v_mul_f64_e32 v[195:196], s[22:23], v[144:145]
	scratch_store_b64 off, v[34:35], off offset:380 ; 8-byte Folded Spill
	v_add_f64_e32 v[34:35], v[100:101], v[203:204]
	v_add_f64_e32 v[156:157], v[102:103], v[156:157]
	;; [unrolled: 1-line block ×3, first 2 shown]
	v_mul_f64_e32 v[217:218], s[22:23], v[126:127]
	scratch_store_b64 off, v[34:35], off offset:388 ; 8-byte Folded Spill
	v_add_f64_e32 v[34:35], v[102:103], v[158:159]
	v_add_f64_e32 v[195:196], v[102:103], v[195:196]
	v_add_f64_e64 v[213:214], v[217:218], -v[213:214]
	v_mul_f64_e32 v[217:218], s[18:19], v[144:145]
	scratch_store_b64 off, v[34:35], off offset:420 ; 8-byte Folded Spill
	v_add_f64_e32 v[213:214], v[100:101], v[213:214]
	v_add_f64_e32 v[207:208], v[207:208], v[217:218]
	v_mul_f64_e32 v[217:218], s[18:19], v[126:127]
	s_delay_alu instid0(VALU_DEP_2) | instskip(NEXT) | instid1(VALU_DEP_2)
	v_add_f64_e32 v[207:208], v[102:103], v[207:208]
	v_add_f64_e64 v[150:151], v[217:218], -v[150:151]
	v_mul_f64_e32 v[217:218], s[2:3], v[144:145]
	v_mul_f64_e32 v[144:145], s[12:13], v[144:145]
	s_delay_alu instid0(VALU_DEP_3) | instskip(NEXT) | instid1(VALU_DEP_3)
	v_add_f64_e32 v[150:151], v[100:101], v[150:151]
	v_add_f64_e32 v[148:149], v[148:149], v[217:218]
	s_delay_alu instid0(VALU_DEP_3) | instskip(SKIP_4) | instid1(VALU_DEP_3)
	v_add_f64_e32 v[144:145], v[146:147], v[144:145]
	v_mul_f64_e32 v[146:147], s[30:31], v[130:131]
	v_mul_f64_e32 v[130:131], s[40:41], v[130:131]
	;; [unrolled: 1-line block ×3, first 2 shown]
	v_add_f64_e32 v[148:149], v[102:103], v[148:149]
	v_fma_f64 v[160:161], v[126:127], s[24:25], v[130:131]
	s_delay_alu instid0(VALU_DEP_3)
	v_add_f64_e64 v[199:200], v[217:218], -v[199:200]
	v_fma_f64 v[217:218], v[126:127], s[28:29], v[146:147]
	v_fma_f64 v[146:147], v[126:127], s[28:29], -v[146:147]
	v_fma_f64 v[130:131], v[126:127], s[24:25], -v[130:131]
	v_mul_f64_e32 v[126:127], s[12:13], v[126:127]
	v_add_f64_e32 v[34:35], v[100:101], v[160:161]
	v_add_f64_e32 v[199:200], v[100:101], v[199:200]
	;; [unrolled: 1-line block ×4, first 2 shown]
	v_add_f64_e64 v[126:127], v[126:127], -v[128:129]
	v_add_f64_e32 v[128:129], v[102:103], v[164:165]
	v_add_f64_e32 v[164:165], v[100:101], v[217:218]
	;; [unrolled: 1-line block ×3, first 2 shown]
	scratch_store_b64 off, v[34:35], off offset:412 ; 8-byte Folded Spill
	v_add_f64_e32 v[34:35], v[102:103], v[144:145]
	v_mul_f64_e32 v[144:145], s[24:25], v[193:194]
	scratch_store_b64 off, v[34:35], off offset:396 ; 8-byte Folded Spill
	v_add_f64_e32 v[34:35], v[100:101], v[126:127]
	v_mul_f64_e32 v[126:127], s[12:13], v[179:180]
	scratch_store_b64 off, v[34:35], off offset:404 ; 8-byte Folded Spill
	v_fma_f64 v[100:101], v[189:190], s[14:15], v[126:127]
	v_fma_f64 v[126:127], v[189:190], s[34:35], v[126:127]
	v_dual_mov_b32 v34, v174 :: v_dual_mov_b32 v35, v175
	v_dual_mov_b32 v175, v171 :: v_dual_mov_b32 v174, v170
	;; [unrolled: 1-line block ×3, first 2 shown]
	v_mul_f64_e32 v[166:167], s[36:37], v[235:236]
	v_add_f64_e32 v[100:101], v[100:101], v[128:129]
	v_mul_f64_e32 v[128:129], s[34:35], v[187:188]
	v_add_f64_e32 v[126:127], v[126:127], v[217:218]
	s_delay_alu instid0(VALU_DEP_2) | instskip(SKIP_1) | instid1(VALU_DEP_2)
	v_fma_f64 v[102:103], v[118:119], s[12:13], v[128:129]
	v_fma_f64 v[128:129], v[118:119], s[12:13], -v[128:129]
	v_add_f64_e32 v[102:103], v[102:103], v[164:165]
	v_fma_f64 v[164:165], v[209:210], s[46:47], v[144:145]
	v_fma_f64 v[144:145], v[209:210], s[40:41], v[144:145]
	s_delay_alu instid0(VALU_DEP_4) | instskip(SKIP_1) | instid1(VALU_DEP_4)
	v_add_f64_e32 v[128:129], v[128:129], v[146:147]
	v_fma_f64 v[146:147], v[215:216], s[18:19], -v[166:167]
	v_add_f64_e32 v[100:101], v[164:165], v[100:101]
	v_mul_f64_e32 v[164:165], s[40:41], v[191:192]
	v_add_f64_e32 v[126:127], v[144:145], v[126:127]
	s_delay_alu instid0(VALU_DEP_2)
	v_fma_f64 v[203:204], v[183:184], s[24:25], v[164:165]
	v_fma_f64 v[144:145], v[183:184], s[24:25], -v[164:165]
	scratch_load_b64 v[164:165], off, off offset:308 th:TH_LOAD_LU ; 8-byte Folded Reload
	v_add_f64_e32 v[102:103], v[203:204], v[102:103]
	v_mul_f64_e32 v[203:204], s[2:3], v[205:206]
	v_add_f64_e32 v[128:129], v[144:145], v[128:129]
	s_delay_alu instid0(VALU_DEP_2) | instskip(SKIP_1) | instid1(VALU_DEP_2)
	v_fma_f64 v[201:202], v[223:224], s[16:17], v[203:204]
	v_fma_f64 v[144:145], v[223:224], s[42:43], v[203:204]
	v_add_f64_e32 v[100:101], v[201:202], v[100:101]
	v_mul_f64_e32 v[201:202], s[42:43], v[225:226]
	s_delay_alu instid0(VALU_DEP_3) | instskip(NEXT) | instid1(VALU_DEP_2)
	v_add_f64_e32 v[126:127], v[144:145], v[126:127]
	v_fma_f64 v[229:230], v[197:198], s[2:3], v[201:202]
	v_fma_f64 v[144:145], v[197:198], s[2:3], -v[201:202]
	scratch_load_b64 v[201:202], off, off offset:332 th:TH_LOAD_LU ; 8-byte Folded Reload
	v_add_f64_e32 v[102:103], v[229:230], v[102:103]
	v_mul_f64_e32 v[229:230], s[22:23], v[219:220]
	v_add_f64_e32 v[128:129], v[144:145], v[128:129]
	s_delay_alu instid0(VALU_DEP_2) | instskip(SKIP_1) | instid1(VALU_DEP_2)
	v_fma_f64 v[160:161], v[233:234], s[38:39], v[229:230]
	v_fma_f64 v[144:145], v[233:234], s[26:27], v[229:230]
	v_add_f64_e32 v[100:101], v[160:161], v[100:101]
	v_mul_f64_e32 v[160:161], s[26:27], v[231:232]
	s_delay_alu instid0(VALU_DEP_3) | instskip(NEXT) | instid1(VALU_DEP_2)
	v_add_f64_e32 v[126:127], v[144:145], v[126:127]
	v_fma_f64 v[144:145], v[211:212], s[22:23], -v[160:161]
	v_fma_f64 v[158:159], v[211:212], s[22:23], v[160:161]
	scratch_load_b64 v[160:161], off, off offset:284 th:TH_LOAD_LU ; 8-byte Folded Reload
	v_add_f64_e32 v[144:145], v[144:145], v[128:129]
	v_fma_f64 v[128:129], v[237:238], s[36:37], v[162:163]
	v_add_f64_e32 v[158:159], v[158:159], v[102:103]
	v_fma_f64 v[102:103], v[237:238], s[20:21], v[162:163]
	scratch_load_b64 v[162:163], off, off offset:260 th:TH_LOAD_LU ; 8-byte Folded Reload
	v_add_f64_e32 v[128:129], v[128:129], v[126:127]
	v_add_f64_e32 v[126:127], v[146:147], v[144:145]
	scratch_load_b64 v[146:147], off, off offset:276 th:TH_LOAD_LU ; 8-byte Folded Reload
	v_add_f64_e32 v[102:103], v[102:103], v[100:101]
	v_fma_f64 v[100:101], v[215:216], s[18:19], v[166:167]
	v_mul_f64_e32 v[144:145], s[22:23], v[179:180]
	scratch_load_b64 v[166:167], off, off offset:268 th:TH_LOAD_LU ; 8-byte Folded Reload
	v_add_f64_e32 v[100:101], v[100:101], v[158:159]
	v_mul_f64_e32 v[158:159], s[28:29], v[193:194]
	s_wait_loadcnt 0x3
	s_delay_alu instid0(VALU_DEP_1) | instskip(SKIP_2) | instid1(VALU_DEP_1)
	v_add_f64_e32 v[158:159], v[160:161], v[158:159]
	v_mul_f64_e32 v[160:161], s[28:29], v[183:184]
	s_wait_loadcnt 0x2
	v_add_f64_e64 v[160:161], v[160:161], -v[162:163]
	v_mul_f64_e32 v[162:163], s[24:25], v[205:206]
	s_wait_loadcnt 0x1
	v_add_f64_e32 v[144:145], v[146:147], v[144:145]
	v_mul_f64_e32 v[146:147], s[22:23], v[118:119]
	s_delay_alu instid0(VALU_DEP_2) | instskip(NEXT) | instid1(VALU_DEP_2)
	v_add_f64_e32 v[144:145], v[144:145], v[148:149]
	v_add_f64_e64 v[146:147], v[146:147], -v[253:254]
	v_mul_f64_e32 v[148:149], s[18:19], v[211:212]
	s_delay_alu instid0(VALU_DEP_3) | instskip(NEXT) | instid1(VALU_DEP_3)
	v_add_f64_e32 v[144:145], v[158:159], v[144:145]
	v_add_f64_e32 v[146:147], v[146:147], v[199:200]
	v_mul_f64_e32 v[158:159], s[12:13], v[227:228]
	s_delay_alu instid0(VALU_DEP_2)
	v_add_f64_e32 v[146:147], v[160:161], v[146:147]
	s_clause 0x1
	scratch_load_b64 v[160:161], off, off offset:316 th:TH_LOAD_LU
	scratch_load_b64 v[199:200], off, off offset:292 th:TH_LOAD_LU
	v_add_f64_e32 v[162:163], v[164:165], v[162:163]
	v_mul_f64_e32 v[164:165], s[24:25], v[197:198]
	v_add_f64_e32 v[10:11], v[10:11], v[158:159]
	v_mul_f64_e32 v[158:159], s[12:13], v[215:216]
	s_delay_alu instid0(VALU_DEP_4) | instskip(SKIP_1) | instid1(VALU_DEP_4)
	v_add_f64_e32 v[144:145], v[162:163], v[144:145]
	s_wait_loadcnt 0x2
	v_add_f64_e64 v[164:165], v[164:165], -v[166:167]
	v_mul_f64_e32 v[166:167], s[18:19], v[219:220]
	s_delay_alu instid0(VALU_DEP_2) | instskip(NEXT) | instid1(VALU_DEP_2)
	v_add_f64_e32 v[146:147], v[164:165], v[146:147]
	v_add_f64_e32 v[166:167], v[201:202], v[166:167]
	s_delay_alu instid0(VALU_DEP_1) | instskip(SKIP_4) | instid1(VALU_DEP_1)
	v_add_f64_e32 v[144:145], v[166:167], v[144:145]
	s_wait_loadcnt 0x1
	v_add_f64_e64 v[158:159], v[158:159], -v[160:161]
	s_wait_loadcnt 0x0
	v_add_f64_e64 v[148:149], v[148:149], -v[199:200]
	v_add_f64_e32 v[148:149], v[148:149], v[146:147]
	s_delay_alu instid0(VALU_DEP_4) | instskip(SKIP_1) | instid1(VALU_DEP_3)
	v_add_f64_e32 v[146:147], v[10:11], v[144:145]
	v_mul_f64_e32 v[10:11], s[28:29], v[179:180]
	v_add_f64_e32 v[144:145], v[158:159], v[148:149]
	scratch_load_b64 v[148:149], off, off offset:300 th:TH_LOAD_LU ; 8-byte Folded Reload
	v_add_f64_e32 v[4:5], v[4:5], v[10:11]
	v_mul_f64_e32 v[10:11], s[28:29], v[118:119]
	s_delay_alu instid0(VALU_DEP_2) | instskip(SKIP_1) | instid1(VALU_DEP_2)
	v_add_f64_e32 v[4:5], v[4:5], v[207:208]
	s_wait_loadcnt 0x0
	v_add_f64_e64 v[10:11], v[10:11], -v[148:149]
	v_mul_f64_e32 v[148:149], s[22:23], v[193:194]
	s_delay_alu instid0(VALU_DEP_2) | instskip(NEXT) | instid1(VALU_DEP_2)
	v_add_f64_e32 v[10:11], v[10:11], v[150:151]
	v_add_f64_e32 v[12:13], v[12:13], v[148:149]
	v_mul_f64_e32 v[148:149], s[22:23], v[183:184]
	s_delay_alu instid0(VALU_DEP_2) | instskip(NEXT) | instid1(VALU_DEP_2)
	v_add_f64_e32 v[4:5], v[12:13], v[4:5]
	v_add_f64_e64 v[0:1], v[148:149], -v[0:1]
	v_mul_f64_e32 v[148:149], s[12:13], v[205:206]
	s_delay_alu instid0(VALU_DEP_2) | instskip(NEXT) | instid1(VALU_DEP_2)
	v_add_f64_e32 v[0:1], v[0:1], v[10:11]
	v_add_f64_e32 v[14:15], v[14:15], v[148:149]
	v_mul_f64_e32 v[148:149], s[12:13], v[197:198]
	v_mul_f64_e32 v[10:11], s[24:25], v[227:228]
	s_delay_alu instid0(VALU_DEP_3) | instskip(NEXT) | instid1(VALU_DEP_3)
	v_add_f64_e32 v[4:5], v[14:15], v[4:5]
	v_add_f64_e64 v[6:7], v[148:149], -v[6:7]
	v_mul_f64_e32 v[148:149], s[2:3], v[219:220]
	s_delay_alu instid0(VALU_DEP_4)
	v_add_f64_e32 v[10:11], v[2:3], v[10:11]
	scratch_load_b64 v[2:3], off, off offset:340 th:TH_LOAD_LU ; 8-byte Folded Reload
	v_mul_f64_e32 v[14:15], s[18:19], v[197:198]
	v_add_f64_e32 v[0:1], v[6:7], v[0:1]
	v_add_f64_e32 v[24:25], v[24:25], v[148:149]
	v_mul_f64_e32 v[148:149], s[2:3], v[211:212]
	v_mul_f64_e32 v[6:7], s[24:25], v[215:216]
	v_add_f64_e64 v[14:15], v[14:15], -v[22:23]
	s_delay_alu instid0(VALU_DEP_3) | instskip(NEXT) | instid1(VALU_DEP_1)
	v_add_f64_e64 v[8:9], v[148:149], -v[8:9]
	v_add_f64_e32 v[0:1], v[8:9], v[0:1]
	s_clause 0x1
	scratch_load_b64 v[8:9], off, off offset:348 th:TH_LOAD_LU
	scratch_load_b64 v[12:13], off, off offset:324 th:TH_LOAD_LU
	s_wait_loadcnt 0x2
	v_add_f64_e64 v[6:7], v[6:7], -v[2:3]
	v_add_f64_e32 v[2:3], v[24:25], v[4:5]
	v_mul_f64_e32 v[4:5], s[12:13], v[193:194]
	s_delay_alu instid0(VALU_DEP_3) | instskip(NEXT) | instid1(VALU_DEP_3)
	v_add_f64_e32 v[0:1], v[6:7], v[0:1]
	v_add_f64_e32 v[2:3], v[10:11], v[2:3]
	v_mul_f64_e32 v[6:7], s[24:25], v[179:180]
	v_mul_f64_e32 v[10:11], s[24:25], v[118:119]
	v_add_f64_e32 v[4:5], v[32:33], v[4:5]
	v_mul_f64_e32 v[32:33], s[22:23], v[227:228]
	s_wait_loadcnt 0x1
	s_delay_alu instid0(VALU_DEP_4) | instskip(SKIP_4) | instid1(VALU_DEP_4)
	v_add_f64_e32 v[6:7], v[8:9], v[6:7]
	v_mul_f64_e32 v[8:9], s[12:13], v[183:184]
	s_wait_loadcnt 0x0
	v_add_f64_e64 v[10:11], v[10:11], -v[12:13]
	v_mul_f64_e32 v[12:13], s[18:19], v[205:206]
	v_add_f64_e32 v[6:7], v[6:7], v[195:196]
	s_delay_alu instid0(VALU_DEP_4)
	v_add_f64_e64 v[8:9], v[8:9], -v[16:17]
	v_mul_f64_e32 v[16:17], s[28:29], v[219:220]
	v_add_f64_e32 v[10:11], v[10:11], v[213:214]
	v_add_f64_e32 v[12:13], v[30:31], v[12:13]
	v_mul_f64_e32 v[30:31], s[26:27], v[235:236]
	v_add_f64_e32 v[4:5], v[4:5], v[6:7]
	v_add_f64_e32 v[16:17], v[18:19], v[16:17]
	v_mul_f64_e32 v[18:19], s[28:29], v[211:212]
	v_add_f64_e32 v[6:7], v[8:9], v[10:11]
	v_mul_f64_e32 v[8:9], s[2:3], v[227:228]
	v_mul_f64_e32 v[10:11], s[2:3], v[215:216]
	v_add_f64_e32 v[4:5], v[12:13], v[4:5]
	v_add_f64_e64 v[18:19], v[18:19], -v[26:27]
	v_add_f64_e32 v[6:7], v[14:15], v[6:7]
	v_add_f64_e32 v[8:9], v[20:21], v[8:9]
	v_add_f64_e64 v[10:11], v[10:11], -v[28:29]
	v_mul_f64_e32 v[14:15], s[36:37], v[187:188]
	v_add_f64_e32 v[4:5], v[16:17], v[4:5]
	v_mul_f64_e32 v[16:17], s[2:3], v[193:194]
	v_add_f64_e32 v[12:13], v[18:19], v[6:7]
	s_delay_alu instid0(VALU_DEP_3) | instskip(NEXT) | instid1(VALU_DEP_3)
	v_add_f64_e32 v[6:7], v[8:9], v[4:5]
	v_fma_f64 v[18:19], v[209:210], s[16:17], v[16:17]
	v_fma_f64 v[16:17], v[209:210], s[42:43], v[16:17]
	s_delay_alu instid0(VALU_DEP_4) | instskip(SKIP_3) | instid1(VALU_DEP_3)
	v_add_f64_e32 v[4:5], v[10:11], v[12:13]
	v_mul_f64_e32 v[12:13], s[18:19], v[179:180]
	v_fma_f64 v[10:11], v[118:119], s[18:19], -v[14:15]
	v_fma_f64 v[14:15], v[118:119], s[18:19], v[14:15]
	v_fma_f64 v[8:9], v[189:190], s[36:37], v[12:13]
	s_delay_alu instid0(VALU_DEP_3) | instskip(SKIP_1) | instid1(VALU_DEP_3)
	v_add_f64_e32 v[10:11], v[10:11], v[130:131]
	v_fma_f64 v[12:13], v[189:190], s[20:21], v[12:13]
	v_add_f64_e32 v[8:9], v[8:9], v[156:157]
	v_mov_b32_e32 v156, v222
	s_delay_alu instid0(VALU_DEP_2) | instskip(SKIP_1) | instid1(VALU_DEP_1)
	v_add_f64_e32 v[8:9], v[18:19], v[8:9]
	v_mul_f64_e32 v[18:19], s[16:17], v[191:192]
	v_fma_f64 v[20:21], v[183:184], s[2:3], -v[18:19]
	s_delay_alu instid0(VALU_DEP_1) | instskip(SKIP_1) | instid1(VALU_DEP_1)
	v_add_f64_e32 v[10:11], v[20:21], v[10:11]
	v_mul_f64_e32 v[20:21], s[28:29], v[205:206]
	v_fma_f64 v[22:23], v[223:224], s[44:45], v[20:21]
	v_fma_f64 v[20:21], v[223:224], s[30:31], v[20:21]
	s_delay_alu instid0(VALU_DEP_2) | instskip(SKIP_1) | instid1(VALU_DEP_1)
	v_add_f64_e32 v[8:9], v[22:23], v[8:9]
	v_mul_f64_e32 v[22:23], s[44:45], v[225:226]
	v_fma_f64 v[24:25], v[197:198], s[28:29], -v[22:23]
	s_delay_alu instid0(VALU_DEP_1) | instskip(SKIP_1) | instid1(VALU_DEP_1)
	v_add_f64_e32 v[10:11], v[24:25], v[10:11]
	v_mul_f64_e32 v[24:25], s[12:13], v[219:220]
	v_fma_f64 v[26:27], v[233:234], s[34:35], v[24:25]
	v_fma_f64 v[24:25], v[233:234], s[14:15], v[24:25]
	s_delay_alu instid0(VALU_DEP_2) | instskip(SKIP_1) | instid1(VALU_DEP_1)
	v_add_f64_e32 v[8:9], v[26:27], v[8:9]
	v_mul_f64_e32 v[26:27], s[34:35], v[231:232]
	v_fma_f64 v[28:29], v[211:212], s[12:13], -v[26:27]
	s_delay_alu instid0(VALU_DEP_1) | instskip(SKIP_1) | instid1(VALU_DEP_1)
	v_add_f64_e32 v[28:29], v[28:29], v[10:11]
	v_fma_f64 v[10:11], v[237:238], s[26:27], v[32:33]
	v_add_f64_e32 v[10:11], v[10:11], v[8:9]
	v_fma_f64 v[8:9], v[215:216], s[22:23], -v[30:31]
	s_delay_alu instid0(VALU_DEP_1)
	v_add_f64_e32 v[8:9], v[8:9], v[28:29]
	v_fma_f64 v[28:29], v[237:238], s[38:39], v[32:33]
	scratch_load_b64 v[32:33], off, off offset:420 th:TH_LOAD_LU ; 8-byte Folded Reload
	s_wait_loadcnt 0x0
	v_add_f64_e32 v[12:13], v[12:13], v[32:33]
	scratch_load_b64 v[32:33], off, off offset:412 th:TH_LOAD_LU ; 8-byte Folded Reload
	v_add_f64_e32 v[12:13], v[16:17], v[12:13]
	v_fma_f64 v[16:17], v[183:184], s[2:3], v[18:19]
	v_fma_f64 v[18:19], v[215:216], s[22:23], v[30:31]
	scratch_load_b64 v[30:31], off, off offset:396 th:TH_LOAD_LU ; 8-byte Folded Reload
	v_add_f64_e32 v[12:13], v[20:21], v[12:13]
	v_mul_f64_e32 v[20:21], s[18:19], v[193:194]
	s_delay_alu instid0(VALU_DEP_2) | instskip(NEXT) | instid1(VALU_DEP_2)
	v_add_f64_e32 v[12:13], v[24:25], v[12:13]
	v_add_f64_e32 v[20:21], v[245:246], v[20:21]
	v_mul_f64_e32 v[24:25], s[22:23], v[205:206]
	s_delay_alu instid0(VALU_DEP_1) | instskip(SKIP_2) | instid1(VALU_DEP_1)
	v_add_f64_e32 v[24:25], v[176:177], v[24:25]
	s_wait_loadcnt 0x1
	v_add_f64_e32 v[14:15], v[14:15], v[32:33]
	v_add_f64_e32 v[14:15], v[16:17], v[14:15]
	v_fma_f64 v[16:17], v[197:198], s[28:29], v[22:23]
	v_mul_f64_e32 v[22:23], s[18:19], v[183:184]
	s_delay_alu instid0(VALU_DEP_2) | instskip(SKIP_1) | instid1(VALU_DEP_3)
	v_add_f64_e32 v[14:15], v[16:17], v[14:15]
	v_fma_f64 v[16:17], v[211:212], s[12:13], v[26:27]
	v_add_f64_e64 v[22:23], v[22:23], -v[243:244]
	v_mul_f64_e32 v[26:27], s[22:23], v[197:198]
	s_delay_alu instid0(VALU_DEP_3) | instskip(SKIP_2) | instid1(VALU_DEP_4)
	v_add_f64_e32 v[16:17], v[16:17], v[14:15]
	v_add_f64_e32 v[14:15], v[28:29], v[12:13]
	v_mul_f64_e32 v[28:29], s[24:25], v[219:220]
	v_add_f64_e64 v[26:27], v[26:27], -v[247:248]
	s_delay_alu instid0(VALU_DEP_4) | instskip(SKIP_3) | instid1(VALU_DEP_3)
	v_add_f64_e32 v[12:13], v[18:19], v[16:17]
	v_mul_f64_e32 v[16:17], s[2:3], v[179:180]
	v_mul_f64_e32 v[18:19], s[2:3], v[118:119]
	v_add_f64_e32 v[28:29], v[181:182], v[28:29]
	v_add_f64_e32 v[16:17], v[241:242], v[16:17]
	s_delay_alu instid0(VALU_DEP_3) | instskip(SKIP_1) | instid1(VALU_DEP_2)
	v_add_f64_e64 v[18:19], v[18:19], -v[239:240]
	s_wait_loadcnt 0x0
	v_add_f64_e32 v[16:17], v[16:17], v[30:31]
	scratch_load_b64 v[30:31], off, off offset:404 th:TH_LOAD_LU ; 8-byte Folded Reload
	v_add_f64_e32 v[16:17], v[20:21], v[16:17]
	v_mul_f64_e32 v[20:21], s[28:29], v[227:228]
	s_delay_alu instid0(VALU_DEP_2) | instskip(NEXT) | instid1(VALU_DEP_2)
	v_add_f64_e32 v[16:17], v[24:25], v[16:17]
	v_add_f64_e32 v[20:21], v[185:186], v[20:21]
	s_delay_alu instid0(VALU_DEP_2) | instskip(SKIP_3) | instid1(VALU_DEP_2)
	v_add_f64_e32 v[16:17], v[28:29], v[16:17]
	s_wait_loadcnt 0x0
	v_add_f64_e32 v[18:19], v[18:19], v[30:31]
	v_mul_f64_e32 v[30:31], s[24:25], v[211:212]
	v_add_f64_e32 v[18:19], v[22:23], v[18:19]
	s_delay_alu instid0(VALU_DEP_2) | instskip(SKIP_1) | instid1(VALU_DEP_3)
	v_add_f64_e64 v[30:31], v[30:31], -v[249:250]
	v_mul_f64_e32 v[22:23], s[28:29], v[215:216]
	v_add_f64_e32 v[18:19], v[26:27], v[18:19]
	s_delay_alu instid0(VALU_DEP_2) | instskip(NEXT) | instid1(VALU_DEP_2)
	v_add_f64_e64 v[22:23], v[22:23], -v[251:252]
	v_add_f64_e32 v[24:25], v[30:31], v[18:19]
	v_add_f64_e32 v[18:19], v[20:21], v[16:17]
	scratch_load_b64 v[20:21], off, off offset:380 th:TH_LOAD_LU ; 8-byte Folded Reload
	v_add_f64_e32 v[16:17], v[22:23], v[24:25]
	s_clause 0x1
	scratch_load_b64 v[24:25], off, off offset:228 th:TH_LOAD_LU
	scratch_load_b64 v[22:23], off, off offset:388 th:TH_LOAD_LU
	s_wait_loadcnt 0x2
	v_add_f64_e32 v[20:21], v[20:21], v[168:169]
	s_delay_alu instid0(VALU_DEP_1) | instskip(SKIP_1) | instid1(VALU_DEP_1)
	v_add_f64_e32 v[20:21], v[20:21], v[172:173]
	s_wait_loadcnt 0x1
	v_add_f64_e32 v[20:21], v[20:21], v[24:25]
	scratch_load_b64 v[24:25], off, off offset:220 th:TH_LOAD_LU ; 8-byte Folded Reload
	s_wait_loadcnt 0x1
	v_add_f64_e32 v[22:23], v[22:23], v[170:171]
	s_delay_alu instid0(VALU_DEP_1) | instskip(SKIP_1) | instid1(VALU_DEP_1)
	v_add_f64_e32 v[22:23], v[22:23], v[174:175]
	s_wait_loadcnt 0x0
	v_add_f64_e32 v[22:23], v[22:23], v[24:25]
	scratch_load_b64 v[24:25], off, off offset:244 th:TH_LOAD_LU ; 8-byte Folded Reload
	s_wait_loadcnt 0x0
	v_add_f64_e32 v[20:21], v[20:21], v[24:25]
	scratch_load_b64 v[24:25], off, off offset:236 th:TH_LOAD_LU ; 8-byte Folded Reload
	v_add_f64_e32 v[20:21], v[20:21], v[110:111]
	s_delay_alu instid0(VALU_DEP_1) | instskip(NEXT) | instid1(VALU_DEP_1)
	v_add_f64_e32 v[20:21], v[20:21], v[116:117]
	v_add_f64_e32 v[20:21], v[20:21], v[120:121]
	s_wait_loadcnt 0x0
	v_add_f64_e32 v[22:23], v[22:23], v[24:25]
	scratch_load_b64 v[24:25], off, off offset:252 th:TH_LOAD_LU ; 8-byte Folded Reload
	v_add_f64_e32 v[22:23], v[22:23], v[122:123]
	s_delay_alu instid0(VALU_DEP_1) | instskip(SKIP_1) | instid1(VALU_DEP_1)
	v_add_f64_e32 v[22:23], v[22:23], v[108:109]
	s_wait_loadcnt 0x0
	v_add_f64_e32 v[22:23], v[22:23], v[24:25]
	scratch_load_b64 v[24:25], off, off offset:212 th:TH_LOAD_LU ; 8-byte Folded Reload
	s_wait_loadcnt 0x0
	v_add_f64_e32 v[20:21], v[20:21], v[24:25]
	scratch_load_b64 v[24:25], off, off offset:204 th:TH_LOAD_LU ; 8-byte Folded Reload
	;; [unrolled: 3-line block ×3, first 2 shown]
	v_add_f64_e32 v[22:23], v[22:23], v[34:35]
	s_wait_loadcnt 0x0
	v_add_f64_e32 v[20:21], v[20:21], v[24:25]
	scratch_load_b64 v[24:25], off, off offset:356 th:TH_LOAD_LU ; 8-byte Folded Reload
	v_add_f64_e32 v[20:21], v[20:21], v[124:125]
	s_wait_loadcnt 0x0
	v_add_f64_e32 v[24:25], v[22:23], v[24:25]
	scratch_load_b64 v[22:23], off, off offset:364 th:TH_LOAD_LU ; 8-byte Folded Reload
	s_wait_loadcnt 0x0
	v_add_f64_e32 v[22:23], v[20:21], v[22:23]
	scratch_load_b64 v[20:21], off, off offset:372 th:TH_LOAD_LU ; 8-byte Folded Reload
	s_wait_loadcnt 0x0
	v_add_f64_e32 v[20:21], v[24:25], v[20:21]
	s_clause 0x1
	scratch_load_b32 v24, off, off offset:192
	scratch_load_b32 v25, off, off offset:156
	s_wait_loadcnt 0x1
	v_mul_u32_u24_e32 v24, 0x75, v24
	s_wait_loadcnt 0x0
	s_delay_alu instid0(VALU_DEP_1)
	v_add_lshl_u32 v24, v24, v25, 4
	ds_store_b128 v24, v[144:147] offset:288
	ds_store_b128 v24, v[0:3] offset:432
	;; [unrolled: 1-line block ×11, first 2 shown]
	ds_store_b128 v24, v[20:23]
	ds_store_b128 v24, v[132:135] offset:1728
.LBB0_5:
	s_or_b32 exec_lo, exec_lo, s33
	scratch_load_b32 v239, off, off offset:8 ; 4-byte Folded Reload
	global_wb scope:SCOPE_SE
	s_wait_storecnt 0x0
	s_wait_loadcnt_dscnt 0x0
	s_barrier_signal -1
	s_barrier_wait -1
	global_inv scope:SCOPE_SE
	s_mov_b32 s12, 0xe8584caa
	s_mov_b32 s13, 0x3febb67a
	;; [unrolled: 1-line block ×3, first 2 shown]
	s_add_nc_u64 s[8:9], s[8:9], 0x41d0
	v_lshlrev_b32_e32 v0, 5, v239
	v_lshlrev_b32_e32 v181, 4, v239
	s_clause 0x1
	global_load_b128 v[100:103], v0, s[10:11] offset:1824
	global_load_b128 v[108:111], v0, s[10:11] offset:1840
	ds_load_b128 v[1:4], v255 offset:5616
	ds_load_b128 v[5:8], v255 offset:3744
	s_wait_loadcnt_dscnt 0x101
	v_mul_f64_e32 v[9:10], v[3:4], v[102:103]
	s_delay_alu instid0(VALU_DEP_1) | instskip(SKIP_1) | instid1(VALU_DEP_1)
	v_fma_f64 v[17:18], v[1:2], v[100:101], -v[9:10]
	v_mul_f64_e32 v[1:2], v[1:2], v[102:103]
	v_fma_f64 v[19:20], v[3:4], v[100:101], v[1:2]
	ds_load_b128 v[1:4], v255 offset:11232
	ds_load_b128 v[9:12], v255 offset:13104
	s_wait_loadcnt_dscnt 0x1
	v_mul_f64_e32 v[13:14], v[3:4], v[110:111]
	s_delay_alu instid0(VALU_DEP_1) | instskip(SKIP_1) | instid1(VALU_DEP_1)
	v_fma_f64 v[21:22], v[1:2], v[108:109], -v[13:14]
	v_mul_f64_e32 v[1:2], v[1:2], v[110:111]
	v_fma_f64 v[23:24], v[3:4], v[108:109], v[1:2]
	ds_load_b128 v[1:4], v255 offset:7488
	ds_load_b128 v[13:16], v255 offset:9360
	s_wait_dscnt 0x1
	v_mul_f64_e32 v[25:26], v[3:4], v[102:103]
	s_delay_alu instid0(VALU_DEP_1) | instskip(SKIP_1) | instid1(VALU_DEP_1)
	v_fma_f64 v[25:26], v[1:2], v[100:101], -v[25:26]
	v_mul_f64_e32 v[1:2], v[1:2], v[102:103]
	v_fma_f64 v[27:28], v[3:4], v[100:101], v[1:2]
	v_mul_f64_e32 v[1:2], v[11:12], v[110:111]
	s_delay_alu instid0(VALU_DEP_1) | instskip(SKIP_1) | instid1(VALU_DEP_1)
	v_fma_f64 v[29:30], v[9:10], v[108:109], -v[1:2]
	v_mul_f64_e32 v[1:2], v[9:10], v[110:111]
	v_fma_f64 v[31:32], v[11:12], v[108:109], v[1:2]
	v_mul_u32_u24_e32 v1, 0x8c09, v156
	s_delay_alu instid0(VALU_DEP_1) | instskip(NEXT) | instid1(VALU_DEP_1)
	v_lshrrev_b32_e32 v1, 22, v1
	v_mul_lo_u16 v1, 0x75, v1
	s_delay_alu instid0(VALU_DEP_1) | instskip(NEXT) | instid1(VALU_DEP_1)
	v_sub_nc_u16 v35, v178, v1
	v_lshlrev_b16 v1, 5, v35
	s_delay_alu instid0(VALU_DEP_1) | instskip(NEXT) | instid1(VALU_DEP_1)
	v_and_b32_e32 v1, 0xffff, v1
	v_add_co_u32 v1, s2, s10, v1
	s_wait_alu 0xf1ff
	v_add_co_ci_u32_e64 v2, null, s11, 0, s2
	s_clause 0x1
	global_load_b128 v[124:127], v[1:2], off offset:1824
	global_load_b128 v[120:123], v[1:2], off offset:1840
	s_wait_alu 0xfffe
	s_mov_b32 s2, s12
	s_wait_loadcnt_dscnt 0x100
	v_mul_f64_e32 v[1:2], v[15:16], v[126:127]
	s_delay_alu instid0(VALU_DEP_1) | instskip(SKIP_2) | instid1(VALU_DEP_2)
	v_fma_f64 v[33:34], v[13:14], v[124:125], -v[1:2]
	v_mul_f64_e32 v[1:2], v[13:14], v[126:127]
	v_add_f64_e32 v[13:14], v[17:18], v[21:22]
	v_fma_f64 v[116:117], v[15:16], v[124:125], v[1:2]
	ds_load_b128 v[1:4], v255 offset:14976
	s_wait_loadcnt_dscnt 0x0
	v_mul_f64_e32 v[9:10], v[3:4], v[122:123]
	s_delay_alu instid0(VALU_DEP_1) | instskip(SKIP_1) | instid1(VALU_DEP_1)
	v_fma_f64 v[118:119], v[1:2], v[120:121], -v[9:10]
	v_mul_f64_e32 v[1:2], v[1:2], v[122:123]
	v_fma_f64 v[128:129], v[3:4], v[120:121], v[1:2]
	ds_load_b128 v[1:4], v255
	ds_load_b128 v[9:12], v255 offset:1872
	global_wb scope:SCOPE_SE
	s_wait_dscnt 0x0
	s_barrier_signal -1
	s_barrier_wait -1
	global_inv scope:SCOPE_SE
	v_fma_f64 v[15:16], v[13:14], -0.5, v[1:2]
	v_add_f64_e32 v[13:14], v[19:20], v[23:24]
	v_add_f64_e32 v[1:2], v[1:2], v[17:18]
	s_delay_alu instid0(VALU_DEP_2) | instskip(SKIP_2) | instid1(VALU_DEP_4)
	v_fma_f64 v[130:131], v[13:14], -0.5, v[3:4]
	v_add_f64_e32 v[3:4], v[3:4], v[19:20]
	v_add_f64_e64 v[19:20], v[19:20], -v[23:24]
	v_add_f64_e32 v[1:2], v[1:2], v[21:22]
	v_add_f64_e64 v[21:22], v[17:18], -v[21:22]
	s_delay_alu instid0(VALU_DEP_4) | instskip(NEXT) | instid1(VALU_DEP_4)
	v_add_f64_e32 v[3:4], v[3:4], v[23:24]
	v_fma_f64 v[13:14], v[19:20], s[12:13], v[15:16]
	s_wait_alu 0xfffe
	v_fma_f64 v[17:18], v[19:20], s[2:3], v[15:16]
	s_delay_alu instid0(VALU_DEP_4) | instskip(SKIP_2) | instid1(VALU_DEP_1)
	v_fma_f64 v[15:16], v[21:22], s[2:3], v[130:131]
	v_fma_f64 v[19:20], v[21:22], s[12:13], v[130:131]
	v_add_f64_e32 v[21:22], v[25:26], v[29:30]
	v_fma_f64 v[23:24], v[21:22], -0.5, v[9:10]
	v_add_f64_e32 v[21:22], v[27:28], v[31:32]
	v_add_f64_e32 v[9:10], v[9:10], v[25:26]
	s_delay_alu instid0(VALU_DEP_2) | instskip(SKIP_2) | instid1(VALU_DEP_4)
	v_fma_f64 v[130:131], v[21:22], -0.5, v[11:12]
	v_add_f64_e32 v[11:12], v[11:12], v[27:28]
	v_add_f64_e64 v[27:28], v[27:28], -v[31:32]
	v_add_f64_e32 v[9:10], v[9:10], v[29:30]
	v_add_f64_e64 v[29:30], v[25:26], -v[29:30]
	s_delay_alu instid0(VALU_DEP_4) | instskip(NEXT) | instid1(VALU_DEP_4)
	v_add_f64_e32 v[11:12], v[11:12], v[31:32]
	v_fma_f64 v[21:22], v[27:28], s[12:13], v[23:24]
	v_fma_f64 v[25:26], v[27:28], s[2:3], v[23:24]
	s_delay_alu instid0(VALU_DEP_4)
	v_fma_f64 v[23:24], v[29:30], s[2:3], v[130:131]
	v_fma_f64 v[27:28], v[29:30], s[12:13], v[130:131]
	v_add_f64_e32 v[29:30], v[33:34], v[118:119]
	ds_store_b128 v255, v[1:4]
	ds_store_b128 v255, v[13:16] offset:1872
	ds_store_b128 v255, v[9:12] offset:5616
	;; [unrolled: 1-line block ×5, first 2 shown]
	v_and_b32_e32 v1, 0xffff, v35
	v_fma_f64 v[31:32], v[29:30], -0.5, v[5:6]
	v_add_f64_e32 v[29:30], v[116:117], v[128:129]
	v_add_f64_e32 v[5:6], v[5:6], v[33:34]
	v_add_f64_e64 v[33:34], v[33:34], -v[118:119]
	v_lshlrev_b32_e32 v176, 4, v1
	s_delay_alu instid0(VALU_DEP_4) | instskip(SKIP_3) | instid1(VALU_DEP_4)
	v_fma_f64 v[130:131], v[29:30], -0.5, v[7:8]
	v_add_f64_e32 v[7:8], v[7:8], v[116:117]
	v_add_f64_e64 v[116:117], v[116:117], -v[128:129]
	v_add_f64_e32 v[5:6], v[5:6], v[118:119]
	v_fma_f64 v[118:119], v[33:34], s[12:13], v[130:131]
	s_delay_alu instid0(VALU_DEP_4) | instskip(NEXT) | instid1(VALU_DEP_4)
	v_add_f64_e32 v[7:8], v[7:8], v[128:129]
	v_fma_f64 v[29:30], v[116:117], s[12:13], v[31:32]
	v_fma_f64 v[116:117], v[116:117], s[2:3], v[31:32]
	;; [unrolled: 1-line block ×3, first 2 shown]
	ds_store_b128 v176, v[5:8] offset:11232
	ds_store_b128 v176, v[29:32] offset:13104
	;; [unrolled: 1-line block ×3, first 2 shown]
	global_wb scope:SCOPE_SE
	s_wait_dscnt 0x0
	s_barrier_signal -1
	s_barrier_wait -1
	global_inv scope:SCOPE_SE
	s_clause 0x1
	global_load_b128 v[116:119], v0, s[10:11] offset:5568
	global_load_b128 v[128:131], v0, s[10:11] offset:5584
	ds_load_b128 v[0:3], v255 offset:5616
	ds_load_b128 v[4:7], v255 offset:3744
	s_wait_loadcnt_dscnt 0x101
	v_mul_f64_e32 v[8:9], v[2:3], v[118:119]
	s_delay_alu instid0(VALU_DEP_1) | instskip(SKIP_1) | instid1(VALU_DEP_1)
	v_fma_f64 v[16:17], v[0:1], v[116:117], -v[8:9]
	v_mul_f64_e32 v[0:1], v[0:1], v[118:119]
	v_fma_f64 v[18:19], v[2:3], v[116:117], v[0:1]
	ds_load_b128 v[0:3], v255 offset:11232
	ds_load_b128 v[8:11], v255 offset:13104
	s_wait_loadcnt_dscnt 0x1
	v_mul_f64_e32 v[12:13], v[2:3], v[130:131]
	s_delay_alu instid0(VALU_DEP_1) | instskip(SKIP_1) | instid1(VALU_DEP_1)
	v_fma_f64 v[20:21], v[0:1], v[128:129], -v[12:13]
	v_mul_f64_e32 v[0:1], v[0:1], v[130:131]
	v_fma_f64 v[22:23], v[2:3], v[128:129], v[0:1]
	v_lshlrev_b32_e32 v0, 5, v221
	s_clause 0x1
	global_load_b128 v[148:151], v0, s[10:11] offset:5568
	global_load_b128 v[144:147], v0, s[10:11] offset:5584
	ds_load_b128 v[0:3], v255 offset:7488
	ds_load_b128 v[12:15], v255 offset:9360
	s_wait_loadcnt_dscnt 0x101
	v_mul_f64_e32 v[24:25], v[2:3], v[150:151]
	s_delay_alu instid0(VALU_DEP_1) | instskip(SKIP_1) | instid1(VALU_DEP_1)
	v_fma_f64 v[24:25], v[0:1], v[148:149], -v[24:25]
	v_mul_f64_e32 v[0:1], v[0:1], v[150:151]
	v_fma_f64 v[26:27], v[2:3], v[148:149], v[0:1]
	s_wait_loadcnt 0x0
	v_mul_f64_e32 v[0:1], v[10:11], v[146:147]
	s_delay_alu instid0(VALU_DEP_1) | instskip(SKIP_1) | instid1(VALU_DEP_1)
	v_fma_f64 v[28:29], v[8:9], v[144:145], -v[0:1]
	v_mul_f64_e32 v[0:1], v[8:9], v[146:147]
	v_fma_f64 v[30:31], v[10:11], v[144:145], v[0:1]
	v_lshlrev_b32_e32 v0, 5, v178
	s_clause 0x1
	global_load_b128 v[160:163], v0, s[10:11] offset:5568
	global_load_b128 v[156:159], v0, s[10:11] offset:5584
	s_wait_loadcnt_dscnt 0x100
	v_mul_f64_e32 v[0:1], v[14:15], v[162:163]
	s_delay_alu instid0(VALU_DEP_1) | instskip(SKIP_2) | instid1(VALU_DEP_2)
	v_fma_f64 v[32:33], v[12:13], v[160:161], -v[0:1]
	v_mul_f64_e32 v[0:1], v[12:13], v[162:163]
	v_add_f64_e32 v[12:13], v[16:17], v[20:21]
	v_fma_f64 v[34:35], v[14:15], v[160:161], v[0:1]
	ds_load_b128 v[0:3], v255 offset:14976
	s_wait_loadcnt_dscnt 0x0
	v_mul_f64_e32 v[8:9], v[2:3], v[158:159]
	s_delay_alu instid0(VALU_DEP_1) | instskip(SKIP_1) | instid1(VALU_DEP_1)
	v_fma_f64 v[164:165], v[0:1], v[156:157], -v[8:9]
	v_mul_f64_e32 v[0:1], v[0:1], v[158:159]
	v_fma_f64 v[166:167], v[2:3], v[156:157], v[0:1]
	ds_load_b128 v[0:3], v255
	ds_load_b128 v[8:11], v255 offset:1872
	s_wait_dscnt 0x1
	v_fma_f64 v[14:15], v[12:13], -0.5, v[0:1]
	v_add_f64_e32 v[12:13], v[18:19], v[22:23]
	v_add_f64_e32 v[0:1], v[0:1], v[16:17]
	s_delay_alu instid0(VALU_DEP_2) | instskip(SKIP_2) | instid1(VALU_DEP_4)
	v_fma_f64 v[168:169], v[12:13], -0.5, v[2:3]
	v_add_f64_e32 v[2:3], v[2:3], v[18:19]
	v_add_f64_e64 v[18:19], v[18:19], -v[22:23]
	v_add_f64_e32 v[0:1], v[0:1], v[20:21]
	v_add_f64_e64 v[20:21], v[16:17], -v[20:21]
	s_delay_alu instid0(VALU_DEP_4) | instskip(NEXT) | instid1(VALU_DEP_4)
	v_add_f64_e32 v[2:3], v[2:3], v[22:23]
	v_fma_f64 v[12:13], v[18:19], s[12:13], v[14:15]
	v_fma_f64 v[16:17], v[18:19], s[2:3], v[14:15]
	s_delay_alu instid0(VALU_DEP_4) | instskip(SKIP_3) | instid1(VALU_DEP_1)
	v_fma_f64 v[14:15], v[20:21], s[2:3], v[168:169]
	v_fma_f64 v[18:19], v[20:21], s[12:13], v[168:169]
	v_add_f64_e32 v[20:21], v[24:25], v[28:29]
	s_wait_dscnt 0x0
	v_fma_f64 v[22:23], v[20:21], -0.5, v[8:9]
	v_add_f64_e32 v[20:21], v[26:27], v[30:31]
	v_add_f64_e32 v[8:9], v[8:9], v[24:25]
	s_delay_alu instid0(VALU_DEP_2) | instskip(SKIP_2) | instid1(VALU_DEP_4)
	v_fma_f64 v[168:169], v[20:21], -0.5, v[10:11]
	v_add_f64_e32 v[10:11], v[10:11], v[26:27]
	v_add_f64_e64 v[26:27], v[26:27], -v[30:31]
	v_add_f64_e32 v[8:9], v[8:9], v[28:29]
	v_add_f64_e64 v[28:29], v[24:25], -v[28:29]
	s_delay_alu instid0(VALU_DEP_4) | instskip(NEXT) | instid1(VALU_DEP_4)
	v_add_f64_e32 v[10:11], v[10:11], v[30:31]
	v_fma_f64 v[20:21], v[26:27], s[12:13], v[22:23]
	v_fma_f64 v[24:25], v[26:27], s[2:3], v[22:23]
	s_delay_alu instid0(VALU_DEP_4) | instskip(SKIP_2) | instid1(VALU_DEP_1)
	v_fma_f64 v[26:27], v[28:29], s[12:13], v[168:169]
	v_fma_f64 v[22:23], v[28:29], s[2:3], v[168:169]
	v_add_f64_e32 v[28:29], v[32:33], v[164:165]
	v_fma_f64 v[30:31], v[28:29], -0.5, v[4:5]
	v_add_f64_e32 v[28:29], v[34:35], v[166:167]
	v_add_f64_e32 v[4:5], v[4:5], v[32:33]
	s_delay_alu instid0(VALU_DEP_2) | instskip(SKIP_2) | instid1(VALU_DEP_4)
	v_fma_f64 v[168:169], v[28:29], -0.5, v[6:7]
	v_add_f64_e32 v[6:7], v[6:7], v[34:35]
	v_add_f64_e64 v[34:35], v[34:35], -v[166:167]
	v_add_f64_e32 v[4:5], v[4:5], v[164:165]
	v_add_f64_e64 v[164:165], v[32:33], -v[164:165]
	s_delay_alu instid0(VALU_DEP_4) | instskip(NEXT) | instid1(VALU_DEP_4)
	v_add_f64_e32 v[6:7], v[6:7], v[166:167]
	v_fma_f64 v[28:29], v[34:35], s[12:13], v[30:31]
	v_fma_f64 v[32:33], v[34:35], s[2:3], v[30:31]
	s_delay_alu instid0(VALU_DEP_4)
	v_fma_f64 v[30:31], v[164:165], s[2:3], v[168:169]
	v_fma_f64 v[34:35], v[164:165], s[12:13], v[168:169]
	ds_store_b128 v255, v[0:3]
	ds_store_b128 v255, v[8:11] offset:1872
	ds_store_b128 v255, v[16:19] offset:11232
	ds_store_b128 v255, v[24:27] offset:13104
	ds_store_b128 v255, v[4:7] offset:3744
	ds_store_b128 v255, v[12:15] offset:5616
	ds_store_b128 v255, v[20:23] offset:7488
	ds_store_b128 v255, v[28:31] offset:9360
	ds_store_b128 v255, v[32:35] offset:14976
	global_wb scope:SCOPE_SE
	s_wait_dscnt 0x0
	s_barrier_signal -1
	s_barrier_wait -1
	global_inv scope:SCOPE_SE
	scratch_load_b64 v[0:1], off, off offset:184 th:TH_LOAD_LU ; 8-byte Folded Reload
	s_wait_loadcnt 0x0
	global_load_b128 v[0:3], v[0:1], off offset:16848
	ds_load_b128 v[4:7], v255
	ds_load_b128 v[8:11], v255 offset:1872
	global_load_b128 v[28:31], v181, s[8:9] offset:11232
	ds_load_b128 v[16:19], v255 offset:5616
	ds_load_b128 v[24:27], v255 offset:3744
	global_load_b128 v[20:23], v181, s[8:9] offset:7488
	s_wait_loadcnt_dscnt 0x203
	v_mul_f64_e32 v[12:13], v[6:7], v[2:3]
	v_mul_f64_e32 v[14:15], v[4:5], v[2:3]
	s_delay_alu instid0(VALU_DEP_2) | instskip(NEXT) | instid1(VALU_DEP_2)
	v_fma_f64 v[2:3], v[4:5], v[0:1], -v[12:13]
	v_fma_f64 v[4:5], v[6:7], v[0:1], v[14:15]
	global_load_b128 v[12:15], v181, s[8:9] offset:5616
	ds_load_b128 v[32:35], v255 offset:11232
	ds_load_b128 v[164:167], v255 offset:13104
	s_clause 0x2
	global_load_b128 v[168:171], v181, s[8:9] offset:9360
	global_load_b128 v[172:175], v181, s[8:9] offset:1872
	;; [unrolled: 1-line block ×3, first 2 shown]
	s_wait_loadcnt_dscnt 0x303
	v_mul_f64_e32 v[0:1], v[18:19], v[14:15]
	v_mul_f64_e32 v[6:7], v[16:17], v[14:15]
	s_delay_alu instid0(VALU_DEP_2) | instskip(SKIP_2) | instid1(VALU_DEP_3)
	v_fma_f64 v[14:15], v[16:17], v[12:13], -v[0:1]
	s_wait_dscnt 0x1
	v_mul_f64_e32 v[0:1], v[34:35], v[30:31]
	v_fma_f64 v[16:17], v[18:19], v[12:13], v[6:7]
	v_mul_f64_e32 v[6:7], v[32:33], v[30:31]
	s_wait_loadcnt 0x1
	v_mul_f64_e32 v[12:13], v[8:9], v[174:175]
	s_delay_alu instid0(VALU_DEP_4) | instskip(SKIP_1) | instid1(VALU_DEP_4)
	v_fma_f64 v[30:31], v[32:33], v[28:29], -v[0:1]
	v_mul_f64_e32 v[0:1], v[10:11], v[174:175]
	v_fma_f64 v[32:33], v[34:35], v[28:29], v[6:7]
	s_delay_alu instid0(VALU_DEP_2)
	v_fma_f64 v[6:7], v[8:9], v[172:173], -v[0:1]
	v_fma_f64 v[8:9], v[10:11], v[172:173], v[12:13]
	ds_load_b128 v[10:13], v255 offset:7488
	ds_load_b128 v[172:175], v255 offset:9360
	s_wait_dscnt 0x1
	v_mul_f64_e32 v[0:1], v[12:13], v[22:23]
	v_mul_f64_e32 v[18:19], v[10:11], v[22:23]
	s_delay_alu instid0(VALU_DEP_2) | instskip(NEXT) | instid1(VALU_DEP_2)
	v_fma_f64 v[10:11], v[10:11], v[20:21], -v[0:1]
	v_fma_f64 v[12:13], v[12:13], v[20:21], v[18:19]
	s_clause 0x1
	global_load_b128 v[18:21], v181, s[8:9] offset:13104
	global_load_b128 v[181:184], v181, s[8:9] offset:14976
	s_wait_loadcnt 0x1
	v_mul_f64_e32 v[0:1], v[166:167], v[20:21]
	v_mul_f64_e32 v[22:23], v[164:165], v[20:21]
	s_delay_alu instid0(VALU_DEP_2) | instskip(NEXT) | instid1(VALU_DEP_2)
	v_fma_f64 v[20:21], v[164:165], v[18:19], -v[0:1]
	v_fma_f64 v[22:23], v[166:167], v[18:19], v[22:23]
	v_mul_f64_e32 v[0:1], v[26:27], v[179:180]
	v_mul_f64_e32 v[18:19], v[24:25], v[179:180]
	s_delay_alu instid0(VALU_DEP_2) | instskip(NEXT) | instid1(VALU_DEP_2)
	v_fma_f64 v[24:25], v[24:25], v[177:178], -v[0:1]
	v_fma_f64 v[26:27], v[26:27], v[177:178], v[18:19]
	s_wait_dscnt 0x0
	v_mul_f64_e32 v[0:1], v[174:175], v[170:171]
	v_mul_f64_e32 v[18:19], v[172:173], v[170:171]
	s_delay_alu instid0(VALU_DEP_2) | instskip(NEXT) | instid1(VALU_DEP_2)
	v_fma_f64 v[164:165], v[172:173], v[168:169], -v[0:1]
	v_fma_f64 v[166:167], v[174:175], v[168:169], v[18:19]
	ds_load_b128 v[168:171], v255 offset:14976
	s_wait_loadcnt_dscnt 0x0
	v_mul_f64_e32 v[0:1], v[170:171], v[183:184]
	v_mul_f64_e32 v[18:19], v[168:169], v[183:184]
	s_delay_alu instid0(VALU_DEP_2) | instskip(NEXT) | instid1(VALU_DEP_2)
	v_fma_f64 v[168:169], v[168:169], v[181:182], -v[0:1]
	v_fma_f64 v[170:171], v[170:171], v[181:182], v[18:19]
	ds_store_b128 v255, v[2:5]
	ds_store_b128 v255, v[6:9] offset:1872
	ds_store_b128 v255, v[30:33] offset:11232
	;; [unrolled: 1-line block ×8, first 2 shown]
	global_wb scope:SCOPE_SE
	s_wait_dscnt 0x0
	s_barrier_signal -1
	s_barrier_wait -1
	global_inv scope:SCOPE_SE
	ds_load_b128 v[0:3], v255 offset:5616
	ds_load_b128 v[4:7], v255
	ds_load_b128 v[8:11], v255 offset:1872
	ds_load_b128 v[12:15], v255 offset:3744
	;; [unrolled: 1-line block ×4, first 2 shown]
	s_wait_dscnt 0x4
	v_add_f64_e32 v[24:25], v[4:5], v[0:1]
	v_add_f64_e32 v[26:27], v[6:7], v[2:3]
	s_wait_dscnt 0x1
	v_add_f64_e32 v[28:29], v[0:1], v[16:17]
	v_add_f64_e32 v[30:31], v[2:3], v[18:19]
	v_add_f64_e64 v[32:33], v[2:3], -v[18:19]
	v_add_f64_e64 v[34:35], v[0:1], -v[16:17]
	v_add_f64_e32 v[0:1], v[24:25], v[16:17]
	v_add_f64_e32 v[2:3], v[26:27], v[18:19]
	ds_load_b128 v[16:19], v255 offset:7488
	ds_load_b128 v[24:27], v255 offset:9360
	s_wait_dscnt 0x1
	v_add_f64_e32 v[164:165], v[8:9], v[16:17]
	v_add_f64_e32 v[166:167], v[10:11], v[18:19]
	;; [unrolled: 1-line block ×4, first 2 shown]
	v_add_f64_e64 v[172:173], v[18:19], -v[22:23]
	v_add_f64_e64 v[174:175], v[16:17], -v[20:21]
	v_add_f64_e32 v[16:17], v[164:165], v[20:21]
	v_add_f64_e32 v[18:19], v[166:167], v[22:23]
	ds_load_b128 v[20:23], v255 offset:14976
	s_wait_dscnt 0x1
	v_add_f64_e32 v[164:165], v[12:13], v[24:25]
	global_wb scope:SCOPE_SE
	s_wait_dscnt 0x0
	s_barrier_signal -1
	s_barrier_wait -1
	global_inv scope:SCOPE_SE
	v_add_f64_e32 v[166:167], v[14:15], v[26:27]
	v_add_f64_e32 v[177:178], v[24:25], v[20:21]
	v_add_f64_e64 v[183:184], v[24:25], -v[20:21]
	v_fma_f64 v[24:25], v[28:29], -0.5, v[4:5]
	scratch_load_b32 v28, off, off offset:180 th:TH_LOAD_LU ; 4-byte Folded Reload
	v_add_f64_e32 v[179:180], v[26:27], v[22:23]
	v_add_f64_e64 v[181:182], v[26:27], -v[22:23]
	v_fma_f64 v[26:27], v[30:31], -0.5, v[6:7]
	v_add_f64_e32 v[20:21], v[164:165], v[20:21]
	v_add_f64_e32 v[22:23], v[166:167], v[22:23]
	v_fma_f64 v[4:5], v[32:33], s[2:3], v[24:25]
	v_fma_f64 v[24:25], v[32:33], s[12:13], v[24:25]
	;; [unrolled: 1-line block ×4, first 2 shown]
	s_wait_loadcnt 0x0
	ds_store_b128 v28, v[0:3]
	ds_store_b128 v28, v[4:7] offset:16
	ds_store_b128 v28, v[24:27] offset:32
	v_fma_f64 v[2:3], v[168:169], -0.5, v[8:9]
	scratch_load_b32 v8, off, off offset:176 th:TH_LOAD_LU ; 4-byte Folded Reload
	v_fma_f64 v[6:7], v[170:171], -0.5, v[10:11]
	v_fma_f64 v[0:1], v[172:173], s[2:3], v[2:3]
	v_fma_f64 v[4:5], v[172:173], s[12:13], v[2:3]
	s_delay_alu instid0(VALU_DEP_3)
	v_fma_f64 v[2:3], v[174:175], s[12:13], v[6:7]
	v_fma_f64 v[6:7], v[174:175], s[2:3], v[6:7]
	s_wait_loadcnt 0x0
	ds_store_b128 v8, v[16:19]
	ds_store_b128 v8, v[0:3] offset:16
	ds_store_b128 v8, v[4:7] offset:32
	scratch_load_b32 v8, off, off offset:172 th:TH_LOAD_LU ; 4-byte Folded Reload
	v_fma_f64 v[2:3], v[177:178], -0.5, v[12:13]
	v_fma_f64 v[6:7], v[179:180], -0.5, v[14:15]
	s_delay_alu instid0(VALU_DEP_2) | instskip(SKIP_1) | instid1(VALU_DEP_3)
	v_fma_f64 v[0:1], v[181:182], s[2:3], v[2:3]
	v_fma_f64 v[4:5], v[181:182], s[12:13], v[2:3]
	;; [unrolled: 1-line block ×4, first 2 shown]
	s_wait_loadcnt 0x0
	ds_store_b128 v8, v[20:23]
	ds_store_b128 v8, v[0:3] offset:16
	ds_store_b128 v8, v[4:7] offset:32
	global_wb scope:SCOPE_SE
	s_wait_dscnt 0x0
	s_barrier_signal -1
	s_barrier_wait -1
	global_inv scope:SCOPE_SE
	ds_load_b128 v[0:3], v255 offset:5616
	ds_load_b128 v[4:7], v255 offset:3744
	s_wait_dscnt 0x1
	v_mul_f64_e32 v[8:9], v[58:59], v[2:3]
	s_delay_alu instid0(VALU_DEP_1) | instskip(SKIP_1) | instid1(VALU_DEP_1)
	v_fma_f64 v[16:17], v[56:57], v[0:1], v[8:9]
	v_mul_f64_e32 v[0:1], v[58:59], v[0:1]
	v_fma_f64 v[18:19], v[56:57], v[2:3], -v[0:1]
	ds_load_b128 v[0:3], v255 offset:11232
	ds_load_b128 v[8:11], v255 offset:13104
	s_wait_dscnt 0x1
	v_mul_f64_e32 v[12:13], v[54:55], v[2:3]
	s_delay_alu instid0(VALU_DEP_1) | instskip(SKIP_1) | instid1(VALU_DEP_1)
	v_fma_f64 v[20:21], v[52:53], v[0:1], v[12:13]
	v_mul_f64_e32 v[0:1], v[54:55], v[0:1]
	v_fma_f64 v[22:23], v[52:53], v[2:3], -v[0:1]
	;; [unrolled: 8-line block ×3, first 2 shown]
	v_mul_f64_e32 v[0:1], v[42:43], v[10:11]
	s_delay_alu instid0(VALU_DEP_1) | instskip(SKIP_1) | instid1(VALU_DEP_1)
	v_fma_f64 v[28:29], v[40:41], v[8:9], v[0:1]
	v_mul_f64_e32 v[0:1], v[42:43], v[8:9]
	v_fma_f64 v[30:31], v[40:41], v[10:11], -v[0:1]
	s_wait_dscnt 0x0
	v_mul_f64_e32 v[0:1], v[46:47], v[14:15]
	s_delay_alu instid0(VALU_DEP_1) | instskip(SKIP_1) | instid1(VALU_DEP_1)
	v_fma_f64 v[32:33], v[44:45], v[12:13], v[0:1]
	v_mul_f64_e32 v[0:1], v[46:47], v[12:13]
	v_fma_f64 v[12:13], v[44:45], v[14:15], -v[0:1]
	ds_load_b128 v[0:3], v255 offset:14976
	s_wait_dscnt 0x0
	v_mul_f64_e32 v[8:9], v[38:39], v[2:3]
	s_delay_alu instid0(VALU_DEP_1) | instskip(SKIP_1) | instid1(VALU_DEP_1)
	v_fma_f64 v[14:15], v[36:37], v[0:1], v[8:9]
	v_mul_f64_e32 v[0:1], v[38:39], v[0:1]
	v_fma_f64 v[34:35], v[36:37], v[2:3], -v[0:1]
	v_add_f64_e32 v[36:37], v[16:17], v[20:21]
	ds_load_b128 v[0:3], v255
	ds_load_b128 v[8:11], v255 offset:1872
	global_wb scope:SCOPE_SE
	s_wait_dscnt 0x0
	s_barrier_signal -1
	s_barrier_wait -1
	global_inv scope:SCOPE_SE
	v_fma_f64 v[40:41], v[36:37], -0.5, v[0:1]
	v_add_f64_e32 v[36:37], v[18:19], v[22:23]
	v_add_f64_e32 v[0:1], v[0:1], v[16:17]
	s_delay_alu instid0(VALU_DEP_2) | instskip(NEXT) | instid1(VALU_DEP_2)
	v_fma_f64 v[42:43], v[36:37], -0.5, v[2:3]
	v_add_f64_e32 v[36:37], v[0:1], v[20:21]
	v_add_f64_e64 v[0:1], v[16:17], -v[20:21]
	v_add_f64_e32 v[2:3], v[2:3], v[18:19]
	v_add_f64_e64 v[16:17], v[26:27], -v[30:31]
	v_add_f64_e64 v[18:19], v[18:19], -v[22:23]
	s_delay_alu instid0(VALU_DEP_4)
	v_fma_f64 v[46:47], v[0:1], s[12:13], v[42:43]
	v_fma_f64 v[42:43], v[0:1], s[2:3], v[42:43]
	v_add_f64_e32 v[0:1], v[24:25], v[28:29]
	v_add_f64_e32 v[38:39], v[2:3], v[22:23]
	;; [unrolled: 1-line block ×3, first 2 shown]
	v_fma_f64 v[44:45], v[18:19], s[2:3], v[40:41]
	v_fma_f64 v[40:41], v[18:19], s[12:13], v[40:41]
	v_fma_f64 v[0:1], v[0:1], -0.5, v[8:9]
	v_add_f64_e32 v[8:9], v[8:9], v[24:25]
	v_fma_f64 v[2:3], v[2:3], -0.5, v[10:11]
	v_add_f64_e32 v[10:11], v[10:11], v[26:27]
	s_delay_alu instid0(VALU_DEP_4) | instskip(NEXT) | instid1(VALU_DEP_4)
	v_fma_f64 v[52:53], v[16:17], s[2:3], v[0:1]
	v_add_f64_e32 v[48:49], v[8:9], v[28:29]
	v_add_f64_e64 v[8:9], v[24:25], -v[28:29]
	v_fma_f64 v[56:57], v[16:17], s[12:13], v[0:1]
	v_add_f64_e32 v[0:1], v[32:33], v[14:15]
	v_add_f64_e32 v[50:51], v[10:11], v[30:31]
	s_delay_alu instid0(VALU_DEP_4) | instskip(SKIP_1) | instid1(VALU_DEP_4)
	v_fma_f64 v[54:55], v[8:9], s[12:13], v[2:3]
	v_fma_f64 v[58:59], v[8:9], s[2:3], v[2:3]
	v_fma_f64 v[0:1], v[0:1], -0.5, v[4:5]
	v_add_f64_e64 v[8:9], v[12:13], -v[34:35]
	v_add_f64_e32 v[2:3], v[12:13], v[34:35]
	v_add_f64_e32 v[4:5], v[4:5], v[32:33]
	s_delay_alu instid0(VALU_DEP_3)
	v_fma_f64 v[172:173], v[8:9], s[2:3], v[0:1]
	v_fma_f64 v[168:169], v[8:9], s[12:13], v[0:1]
	scratch_load_b32 v0, off, off offset:168 th:TH_LOAD_LU ; 4-byte Folded Reload
	v_fma_f64 v[2:3], v[2:3], -0.5, v[6:7]
	v_add_f64_e32 v[6:7], v[6:7], v[12:13]
	v_add_f64_e32 v[164:165], v[4:5], v[14:15]
	v_add_f64_e64 v[4:5], v[32:33], -v[14:15]
	s_wait_loadcnt 0x0
	ds_store_b128 v0, v[36:39]
	ds_store_b128 v0, v[44:47] offset:48
	ds_store_b128 v0, v[40:43] offset:96
	scratch_load_b32 v0, off, off offset:164 th:TH_LOAD_LU ; 4-byte Folded Reload
	v_add_f64_e32 v[166:167], v[6:7], v[34:35]
	v_fma_f64 v[174:175], v[4:5], s[12:13], v[2:3]
	v_fma_f64 v[170:171], v[4:5], s[2:3], v[2:3]
	s_wait_loadcnt 0x0
	ds_store_b128 v0, v[48:51]
	ds_store_b128 v0, v[52:55] offset:48
	ds_store_b128 v0, v[56:59] offset:96
	scratch_load_b32 v0, off, off offset:160 th:TH_LOAD_LU ; 4-byte Folded Reload
	s_wait_loadcnt 0x0
	ds_store_b128 v0, v[164:167]
	ds_store_b128 v0, v[172:175] offset:48
	ds_store_b128 v0, v[168:171] offset:96
	global_wb scope:SCOPE_SE
	s_wait_dscnt 0x0
	s_barrier_signal -1
	s_barrier_wait -1
	global_inv scope:SCOPE_SE
	s_and_saveexec_b32 s2, vcc_lo
	s_cbranch_execz .LBB0_7
; %bb.6:
	ds_load_b128 v[36:39], v255
	ds_load_b128 v[44:47], v255 offset:1296
	ds_load_b128 v[40:43], v255 offset:2592
	;; [unrolled: 1-line block ×12, first 2 shown]
.LBB0_7:
	s_wait_alu 0xfffe
	s_or_b32 exec_lo, exec_lo, s2
	global_wb scope:SCOPE_SE
	s_wait_dscnt 0x0
	s_barrier_signal -1
	s_barrier_wait -1
	global_inv scope:SCOPE_SE
	s_and_saveexec_b32 s33, vcc_lo
	s_cbranch_execz .LBB0_9
; %bb.8:
	v_mul_f64_e32 v[0:1], v[106:107], v[166:167]
	v_mul_f64_e32 v[4:5], v[98:99], v[170:171]
	;; [unrolled: 1-line block ×3, first 2 shown]
	s_mov_b32 s34, 0x4267c47c
	s_mov_b32 s24, 0x66966769
	;; [unrolled: 1-line block ×13, first 2 shown]
	s_wait_alu 0xfffe
	s_mov_b32 s30, s26
	s_mov_b32 s28, s24
	;; [unrolled: 1-line block ×16, first 2 shown]
	s_delay_alu instid0(VALU_DEP_3) | instskip(SKIP_1) | instid1(VALU_DEP_3)
	v_fma_f64 v[177:178], v[104:105], v[164:165], v[0:1]
	v_mul_f64_e32 v[0:1], v[106:107], v[164:165]
	v_fma_f64 v[2:3], v[60:61], v[46:47], -v[2:3]
	s_delay_alu instid0(VALU_DEP_2) | instskip(SKIP_1) | instid1(VALU_DEP_1)
	v_fma_f64 v[106:107], v[104:105], v[166:167], -v[0:1]
	v_mul_f64_e32 v[0:1], v[114:115], v[174:175]
	v_fma_f64 v[104:105], v[112:113], v[172:173], v[0:1]
	v_mul_f64_e32 v[0:1], v[114:115], v[172:173]
	s_delay_alu instid0(VALU_DEP_2) | instskip(NEXT) | instid1(VALU_DEP_2)
	v_add_f64_e64 v[6:7], v[177:178], -v[104:105]
	v_fma_f64 v[112:113], v[112:113], v[174:175], -v[0:1]
	v_mul_f64_e32 v[0:1], v[94:95], v[58:59]
	v_add_f64_e32 v[211:212], v[177:178], v[104:105]
	s_delay_alu instid0(VALU_DEP_4) | instskip(NEXT) | instid1(VALU_DEP_4)
	v_mul_f64_e32 v[24:25], s[34:35], v[6:7]
	v_add_f64_e64 v[10:11], v[106:107], -v[112:113]
	s_delay_alu instid0(VALU_DEP_4)
	v_fma_f64 v[114:115], v[92:93], v[56:57], v[0:1]
	v_mul_f64_e32 v[0:1], v[94:95], v[56:57]
	v_add_f64_e32 v[207:208], v[106:107], v[112:113]
	v_mul_f64_e32 v[209:210], s[24:25], v[6:7]
	v_mul_f64_e32 v[235:236], s[16:17], v[6:7]
	;; [unrolled: 1-line block ×4, first 2 shown]
	v_fma_f64 v[56:57], v[92:93], v[58:59], -v[0:1]
	v_mul_f64_e32 v[0:1], v[62:63], v[46:47]
	v_mul_f64_e32 v[237:238], s[16:17], v[10:11]
	s_delay_alu instid0(VALU_DEP_2) | instskip(SKIP_2) | instid1(VALU_DEP_3)
	v_fma_f64 v[0:1], v[60:61], v[44:45], v[0:1]
	v_fma_f64 v[44:45], v[96:97], v[168:169], v[4:5]
	v_mul_f64_e32 v[4:5], v[98:99], v[168:169]
	v_add_f64_e32 v[183:184], v[36:37], v[0:1]
	s_delay_alu instid0(VALU_DEP_3) | instskip(NEXT) | instid1(VALU_DEP_3)
	v_add_f64_e64 v[8:9], v[114:115], -v[44:45]
	v_fma_f64 v[46:47], v[96:97], v[170:171], -v[4:5]
	v_mul_f64_e32 v[4:5], v[86:87], v[54:55]
	s_delay_alu instid0(VALU_DEP_3) | instskip(NEXT) | instid1(VALU_DEP_3)
	v_mul_f64_e32 v[221:222], s[24:25], v[8:9]
	v_add_f64_e32 v[199:200], v[56:57], v[46:47]
	s_delay_alu instid0(VALU_DEP_3) | instskip(SKIP_1) | instid1(VALU_DEP_1)
	v_fma_f64 v[58:59], v[84:85], v[52:53], v[4:5]
	v_mul_f64_e32 v[4:5], v[86:87], v[52:53]
	v_fma_f64 v[60:61], v[84:85], v[54:55], -v[4:5]
	v_mul_f64_e32 v[4:5], v[90:91], v[154:155]
	s_delay_alu instid0(VALU_DEP_1) | instskip(SKIP_1) | instid1(VALU_DEP_2)
	v_fma_f64 v[52:53], v[88:89], v[152:153], v[4:5]
	v_mul_f64_e32 v[4:5], v[90:91], v[152:153]
	v_add_f64_e64 v[14:15], v[58:59], -v[52:53]
	s_delay_alu instid0(VALU_DEP_2) | instskip(SKIP_2) | instid1(VALU_DEP_4)
	v_fma_f64 v[54:55], v[88:89], v[154:155], -v[4:5]
	v_mul_f64_e32 v[4:5], v[78:79], v[50:51]
	v_add_f64_e32 v[197:198], v[58:59], v[52:53]
	v_mul_f64_e32 v[28:29], s[34:35], v[14:15]
	s_delay_alu instid0(VALU_DEP_4) | instskip(NEXT) | instid1(VALU_DEP_4)
	v_add_f64_e64 v[12:13], v[60:61], -v[54:55]
	v_fma_f64 v[84:85], v[76:77], v[48:49], v[4:5]
	v_mul_f64_e32 v[4:5], v[78:79], v[48:49]
	v_add_f64_e32 v[195:196], v[60:61], v[54:55]
	s_wait_alu 0xfffe
	v_mul_f64_e32 v[217:218], s[36:37], v[14:15]
	v_mul_f64_e32 v[30:31], s[34:35], v[12:13]
	;; [unrolled: 1-line block ×3, first 2 shown]
	v_fma_f64 v[76:77], v[76:77], v[50:51], -v[4:5]
	v_mul_f64_e32 v[4:5], v[82:83], v[142:143]
	s_delay_alu instid0(VALU_DEP_1) | instskip(SKIP_1) | instid1(VALU_DEP_2)
	v_fma_f64 v[48:49], v[80:81], v[140:141], v[4:5]
	v_mul_f64_e32 v[4:5], v[82:83], v[140:141]
	v_add_f64_e64 v[18:19], v[84:85], -v[48:49]
	s_delay_alu instid0(VALU_DEP_2) | instskip(SKIP_2) | instid1(VALU_DEP_4)
	v_fma_f64 v[50:51], v[80:81], v[142:143], -v[4:5]
	v_mul_f64_e32 v[4:5], v[70:71], v[42:43]
	v_add_f64_e32 v[193:194], v[84:85], v[48:49]
	v_mul_f64_e32 v[32:33], s[34:35], v[18:19]
	s_delay_alu instid0(VALU_DEP_4) | instskip(NEXT) | instid1(VALU_DEP_4)
	v_add_f64_e64 v[16:17], v[76:77], -v[50:51]
	v_fma_f64 v[78:79], v[68:69], v[40:41], v[4:5]
	v_mul_f64_e32 v[4:5], v[70:71], v[40:41]
	v_add_f64_e32 v[191:192], v[76:77], v[50:51]
	s_delay_alu instid0(VALU_DEP_4) | instskip(SKIP_1) | instid1(VALU_DEP_4)
	v_mul_f64_e32 v[34:35], s[34:35], v[16:17]
	v_mul_f64_e32 v[215:216], s[18:19], v[16:17]
	v_fma_f64 v[68:69], v[68:69], v[42:43], -v[4:5]
	v_mul_f64_e32 v[4:5], v[74:75], v[138:139]
	s_delay_alu instid0(VALU_DEP_1) | instskip(SKIP_2) | instid1(VALU_DEP_3)
	v_fma_f64 v[40:41], v[72:73], v[136:137], v[4:5]
	v_mul_f64_e32 v[4:5], v[74:75], v[136:137]
	v_mul_f64_e32 v[74:75], s[34:35], v[8:9]
	v_add_f64_e64 v[22:23], v[78:79], -v[40:41]
	s_delay_alu instid0(VALU_DEP_3) | instskip(SKIP_2) | instid1(VALU_DEP_4)
	v_fma_f64 v[62:63], v[72:73], v[138:139], -v[4:5]
	v_mul_f64_e32 v[4:5], v[66:67], v[134:135]
	v_add_f64_e32 v[189:190], v[78:79], v[40:41]
	v_mul_f64_e32 v[225:226], s[18:19], v[22:23]
	s_delay_alu instid0(VALU_DEP_4) | instskip(NEXT) | instid1(VALU_DEP_4)
	v_add_f64_e64 v[20:21], v[68:69], -v[62:63]
	v_fma_f64 v[42:43], v[64:65], v[132:133], v[4:5]
	v_mul_f64_e32 v[4:5], v[66:67], v[132:133]
	v_mul_f64_e32 v[66:67], s[34:35], v[22:23]
	v_add_f64_e32 v[187:188], v[68:69], v[62:63]
	v_mul_f64_e32 v[70:71], s[34:35], v[20:21]
	v_add_f64_e64 v[72:73], v[0:1], -v[42:43]
	v_fma_f64 v[64:65], v[64:65], v[134:135], -v[4:5]
	v_add_f64_e64 v[4:5], v[56:57], -v[46:47]
	v_add_f64_e32 v[166:167], v[0:1], v[42:43]
	s_delay_alu instid0(VALU_DEP_4) | instskip(SKIP_1) | instid1(VALU_DEP_4)
	v_mul_f64_e32 v[82:83], s[18:19], v[72:73]
	v_mul_f64_e32 v[86:87], s[16:17], v[72:73]
	v_mul_f64_e32 v[80:81], s[34:35], v[4:5]
	s_mov_b32 s35, 0xbfddbe06
	v_mul_f64_e32 v[88:89], s[20:21], v[72:73]
	v_mul_f64_e32 v[90:91], s[28:29], v[72:73]
	;; [unrolled: 1-line block ×3, first 2 shown]
	s_wait_alu 0xfffe
	v_mul_f64_e32 v[72:73], s[34:35], v[72:73]
	v_add_f64_e32 v[94:95], v[2:3], v[64:65]
	v_mul_f64_e32 v[203:204], s[20:21], v[4:5]
	v_mul_f64_e32 v[223:224], s[24:25], v[4:5]
	s_delay_alu instid0(VALU_DEP_3)
	v_fma_f64 v[96:97], v[94:95], s[14:15], v[82:83]
	v_fma_f64 v[82:83], v[94:95], s[14:15], -v[82:83]
	v_fma_f64 v[98:99], v[94:95], s[8:9], v[86:87]
	v_fma_f64 v[86:87], v[94:95], s[8:9], -v[86:87]
	;; [unrolled: 2-line block ×6, first 2 shown]
	v_add_f64_e64 v[94:95], v[2:3], -v[64:65]
	v_add_f64_e32 v[0:1], v[38:39], v[96:97]
	v_add_f64_e32 v[82:83], v[38:39], v[82:83]
	;; [unrolled: 1-line block ×8, first 2 shown]
	v_mul_f64_e32 v[140:141], s[18:19], v[94:95]
	v_mul_f64_e32 v[142:143], s[16:17], v[94:95]
	;; [unrolled: 1-line block ×6, first 2 shown]
	s_mov_b32 s35, 0x3fcea1e5
	s_mov_b32 s34, s18
	v_fma_f64 v[168:169], v[166:167], s[14:15], -v[140:141]
	v_fma_f64 v[140:141], v[166:167], s[14:15], v[140:141]
	v_fma_f64 v[170:171], v[166:167], s[8:9], -v[142:143]
	v_fma_f64 v[142:143], v[166:167], s[8:9], v[142:143]
	;; [unrolled: 2-line block ×5, first 2 shown]
	v_fma_f64 v[181:182], v[166:167], s[22:23], v[94:95]
	v_fma_f64 v[94:95], v[166:167], s[22:23], -v[94:95]
	v_add_f64_e32 v[166:167], v[38:39], v[2:3]
	v_add_f64_e32 v[2:3], v[36:37], v[168:169]
	;; [unrolled: 1-line block ×15, first 2 shown]
	v_fma_f64 v[36:37], v[187:188], s[22:23], v[66:67]
	v_add_f64_e32 v[170:171], v[38:39], v[88:89]
	v_add_f64_e32 v[164:165], v[38:39], v[72:73]
	v_fma_f64 v[66:67], v[187:188], s[22:23], -v[66:67]
	s_delay_alu instid0(VALU_DEP_4) | instskip(SKIP_2) | instid1(VALU_DEP_4)
	v_add_f64_e32 v[0:1], v[36:37], v[0:1]
	v_fma_f64 v[36:37], v[189:190], s[22:23], -v[70:71]
	v_fma_f64 v[70:71], v[189:190], s[22:23], v[70:71]
	v_add_f64_e32 v[66:67], v[66:67], v[82:83]
	v_mul_f64_e32 v[82:83], s[24:25], v[20:21]
	s_delay_alu instid0(VALU_DEP_4) | instskip(SKIP_2) | instid1(VALU_DEP_2)
	v_add_f64_e32 v[2:3], v[36:37], v[2:3]
	v_mul_f64_e32 v[36:37], s[16:17], v[18:19]
	v_add_f64_e32 v[70:71], v[70:71], v[96:97]
	v_fma_f64 v[38:39], v[191:192], s[8:9], v[36:37]
	v_fma_f64 v[36:37], v[191:192], s[8:9], -v[36:37]
	s_delay_alu instid0(VALU_DEP_2) | instskip(SKIP_1) | instid1(VALU_DEP_3)
	v_add_f64_e32 v[0:1], v[38:39], v[0:1]
	v_mul_f64_e32 v[38:39], s[16:17], v[16:17]
	v_add_f64_e32 v[36:37], v[36:37], v[66:67]
	s_delay_alu instid0(VALU_DEP_2) | instskip(SKIP_1) | instid1(VALU_DEP_2)
	v_fma_f64 v[72:73], v[193:194], s[8:9], -v[38:39]
	v_fma_f64 v[38:39], v[193:194], s[8:9], v[38:39]
	v_add_f64_e32 v[2:3], v[72:73], v[2:3]
	v_mul_f64_e32 v[72:73], s[26:27], v[14:15]
	s_delay_alu instid0(VALU_DEP_3) | instskip(SKIP_1) | instid1(VALU_DEP_3)
	v_add_f64_e32 v[38:39], v[38:39], v[70:71]
	v_fma_f64 v[70:71], v[211:212], s[10:11], v[213:214]
	v_fma_f64 v[88:89], v[195:196], s[12:13], v[72:73]
	v_fma_f64 v[66:67], v[195:196], s[12:13], -v[72:73]
	v_fma_f64 v[72:73], v[189:190], s[10:11], -v[82:83]
	v_fma_f64 v[82:83], v[189:190], s[10:11], v[82:83]
	s_delay_alu instid0(VALU_DEP_4)
	v_add_f64_e32 v[0:1], v[88:89], v[0:1]
	v_mul_f64_e32 v[88:89], s[26:27], v[12:13]
	v_add_f64_e32 v[36:37], v[66:67], v[36:37]
	v_add_f64_e32 v[72:73], v[72:73], v[140:141]
	v_add_f64_e32 v[82:83], v[82:83], v[142:143]
	s_wait_alu 0xfffe
	v_mul_f64_e32 v[142:143], s[34:35], v[8:9]
	v_fma_f64 v[94:95], v[197:198], s[12:13], -v[88:89]
	v_fma_f64 v[66:67], v[197:198], s[12:13], v[88:89]
	v_mul_f64_e32 v[88:89], s[30:31], v[18:19]
	s_delay_alu instid0(VALU_DEP_3) | instskip(SKIP_1) | instid1(VALU_DEP_4)
	v_add_f64_e32 v[2:3], v[94:95], v[2:3]
	v_mul_f64_e32 v[94:95], s[20:21], v[8:9]
	v_add_f64_e32 v[38:39], v[66:67], v[38:39]
	s_delay_alu instid0(VALU_DEP_2) | instskip(SKIP_2) | instid1(VALU_DEP_3)
	v_fma_f64 v[201:202], v[199:200], s[2:3], v[94:95]
	v_fma_f64 v[66:67], v[199:200], s[2:3], -v[94:95]
	v_fma_f64 v[94:95], v[191:192], s[12:13], v[88:89]
	v_add_f64_e32 v[0:1], v[201:202], v[0:1]
	v_add_f64_e32 v[201:202], v[114:115], v[44:45]
	s_delay_alu instid0(VALU_DEP_4) | instskip(NEXT) | instid1(VALU_DEP_2)
	v_add_f64_e32 v[36:37], v[66:67], v[36:37]
	v_fma_f64 v[66:67], v[201:202], s[2:3], v[203:204]
	v_fma_f64 v[205:206], v[201:202], s[2:3], -v[203:204]
	v_mul_f64_e32 v[203:204], s[20:21], v[6:7]
	s_delay_alu instid0(VALU_DEP_3) | instskip(SKIP_1) | instid1(VALU_DEP_4)
	v_add_f64_e32 v[66:67], v[66:67], v[38:39]
	v_fma_f64 v[38:39], v[207:208], s[10:11], -v[209:210]
	v_add_f64_e32 v[205:206], v[205:206], v[2:3]
	v_fma_f64 v[2:3], v[207:208], s[10:11], v[209:210]
	v_mul_f64_e32 v[209:210], s[20:21], v[20:21]
	s_delay_alu instid0(VALU_DEP_4)
	v_add_f64_e32 v[38:39], v[38:39], v[36:37]
	v_add_f64_e32 v[36:37], v[70:71], v[66:67]
	v_mul_f64_e32 v[66:67], s[24:25], v[22:23]
	v_add_f64_e32 v[2:3], v[2:3], v[0:1]
	v_fma_f64 v[0:1], v[211:212], s[10:11], -v[213:214]
	v_mul_f64_e32 v[213:214], s[18:19], v[18:19]
	s_mov_b32 s25, 0x3fedeba7
	s_mov_b32 s24, s20
	s_delay_alu instid0(VALU_DEP_4) | instskip(SKIP_1) | instid1(VALU_DEP_4)
	v_fma_f64 v[70:71], v[187:188], s[10:11], v[66:67]
	v_fma_f64 v[66:67], v[187:188], s[10:11], -v[66:67]
	v_add_f64_e32 v[0:1], v[0:1], v[205:206]
	v_mul_f64_e32 v[205:206], s[20:21], v[10:11]
	s_delay_alu instid0(VALU_DEP_4) | instskip(NEXT) | instid1(VALU_DEP_4)
	v_add_f64_e32 v[70:71], v[70:71], v[98:99]
	v_add_f64_e32 v[66:67], v[66:67], v[86:87]
	v_fma_f64 v[86:87], v[191:192], s[12:13], -v[88:89]
	v_fma_f64 v[88:89], v[191:192], s[22:23], v[32:33]
	v_fma_f64 v[32:33], v[191:192], s[22:23], -v[32:33]
	v_add_f64_e32 v[70:71], v[94:95], v[70:71]
	v_mul_f64_e32 v[94:95], s[30:31], v[16:17]
	v_add_f64_e32 v[66:67], v[86:87], v[66:67]
	s_delay_alu instid0(VALU_DEP_2) | instskip(SKIP_1) | instid1(VALU_DEP_2)
	v_fma_f64 v[96:97], v[193:194], s[12:13], -v[94:95]
	v_fma_f64 v[86:87], v[193:194], s[12:13], v[94:95]
	v_add_f64_e32 v[72:73], v[96:97], v[72:73]
	v_mul_f64_e32 v[96:97], s[34:35], v[14:15]
	s_delay_alu instid0(VALU_DEP_3) | instskip(NEXT) | instid1(VALU_DEP_2)
	v_add_f64_e32 v[82:83], v[86:87], v[82:83]
	v_fma_f64 v[98:99], v[195:196], s[14:15], v[96:97]
	v_fma_f64 v[86:87], v[195:196], s[14:15], -v[96:97]
	s_delay_alu instid0(VALU_DEP_2) | instskip(SKIP_1) | instid1(VALU_DEP_3)
	v_add_f64_e32 v[70:71], v[98:99], v[70:71]
	v_mul_f64_e32 v[98:99], s[34:35], v[12:13]
	v_add_f64_e32 v[66:67], v[86:87], v[66:67]
	s_delay_alu instid0(VALU_DEP_2) | instskip(SKIP_2) | instid1(VALU_DEP_3)
	v_fma_f64 v[140:141], v[197:198], s[14:15], -v[98:99]
	v_fma_f64 v[86:87], v[197:198], s[14:15], v[98:99]
	v_mul_f64_e32 v[98:99], s[36:37], v[20:21]
	v_add_f64_e32 v[72:73], v[140:141], v[72:73]
	v_fma_f64 v[140:141], v[199:200], s[22:23], v[74:75]
	v_fma_f64 v[74:75], v[199:200], s[22:23], -v[74:75]
	v_add_f64_e32 v[82:83], v[86:87], v[82:83]
	v_fma_f64 v[86:87], v[211:212], s[2:3], v[205:206]
	s_delay_alu instid0(VALU_DEP_4) | instskip(SKIP_4) | instid1(VALU_DEP_4)
	v_add_f64_e32 v[70:71], v[140:141], v[70:71]
	v_fma_f64 v[140:141], v[201:202], s[22:23], -v[80:81]
	v_add_f64_e32 v[66:67], v[74:75], v[66:67]
	v_fma_f64 v[74:75], v[201:202], s[22:23], v[80:81]
	v_fma_f64 v[80:81], v[207:208], s[2:3], -v[203:204]
	v_add_f64_e32 v[140:141], v[140:141], v[72:73]
	v_fma_f64 v[72:73], v[207:208], s[2:3], v[203:204]
	s_delay_alu instid0(VALU_DEP_4) | instskip(NEXT) | instid1(VALU_DEP_4)
	v_add_f64_e32 v[74:75], v[74:75], v[82:83]
	v_add_f64_e32 v[82:83], v[80:81], v[66:67]
	v_mul_f64_e32 v[66:67], s[36:37], v[22:23]
	v_mul_f64_e32 v[203:204], s[26:27], v[6:7]
	v_add_f64_e32 v[72:73], v[72:73], v[70:71]
	v_add_f64_e32 v[80:81], v[86:87], v[74:75]
	v_fma_f64 v[86:87], v[189:190], s[8:9], -v[98:99]
	v_fma_f64 v[74:75], v[187:188], s[8:9], v[66:67]
	v_fma_f64 v[70:71], v[211:212], s[2:3], -v[205:206]
	v_mul_f64_e32 v[205:206], s[20:21], v[22:23]
	v_fma_f64 v[66:67], v[187:188], s[8:9], -v[66:67]
	v_fma_f64 v[98:99], v[189:190], s[8:9], v[98:99]
	v_mul_f64_e32 v[22:23], s[30:31], v[22:23]
	v_add_f64_e32 v[86:87], v[86:87], v[168:169]
	v_add_f64_e32 v[74:75], v[74:75], v[132:133]
	v_mul_f64_e32 v[132:133], s[28:29], v[14:15]
	v_add_f64_e32 v[70:71], v[70:71], v[140:141]
	v_mul_f64_e32 v[140:141], s[28:29], v[12:13]
	v_mul_f64_e32 v[168:169], s[34:35], v[4:5]
	v_add_f64_e32 v[66:67], v[66:67], v[170:171]
	v_add_f64_e32 v[98:99], v[98:99], v[152:153]
	v_mul_f64_e32 v[14:15], s[20:21], v[14:15]
	v_mul_f64_e32 v[12:13], s[20:21], v[12:13]
	v_add_f64_e32 v[74:75], v[88:89], v[74:75]
	v_fma_f64 v[88:89], v[193:194], s[22:23], -v[34:35]
	v_fma_f64 v[34:35], v[193:194], s[22:23], v[34:35]
	v_add_f64_e32 v[32:33], v[32:33], v[66:67]
	v_fma_f64 v[66:67], v[195:196], s[10:11], -v[132:133]
	s_delay_alu instid0(VALU_DEP_4)
	v_add_f64_e32 v[86:87], v[88:89], v[86:87]
	v_fma_f64 v[88:89], v[195:196], s[10:11], v[132:133]
	v_add_f64_e32 v[34:35], v[34:35], v[98:99]
	v_mul_f64_e32 v[132:133], s[18:19], v[10:11]
	v_add_f64_e32 v[32:33], v[66:67], v[32:33]
	v_fma_f64 v[66:67], v[197:198], s[10:11], v[140:141]
	v_add_f64_e32 v[74:75], v[88:89], v[74:75]
	v_fma_f64 v[88:89], v[197:198], s[10:11], -v[140:141]
	s_delay_alu instid0(VALU_DEP_3) | instskip(SKIP_1) | instid1(VALU_DEP_3)
	v_add_f64_e32 v[34:35], v[66:67], v[34:35]
	v_fma_f64 v[66:67], v[199:200], s[14:15], -v[142:143]
	v_add_f64_e32 v[86:87], v[88:89], v[86:87]
	v_fma_f64 v[88:89], v[199:200], s[14:15], v[142:143]
	s_delay_alu instid0(VALU_DEP_3) | instskip(SKIP_1) | instid1(VALU_DEP_3)
	v_add_f64_e32 v[32:33], v[66:67], v[32:33]
	v_fma_f64 v[66:67], v[201:202], s[14:15], v[168:169]
	v_add_f64_e32 v[74:75], v[88:89], v[74:75]
	v_fma_f64 v[88:89], v[201:202], s[14:15], -v[168:169]
	s_delay_alu instid0(VALU_DEP_3) | instskip(SKIP_1) | instid1(VALU_DEP_3)
	v_add_f64_e32 v[66:67], v[66:67], v[34:35]
	v_fma_f64 v[34:35], v[207:208], s[12:13], -v[203:204]
	v_add_f64_e32 v[86:87], v[88:89], v[86:87]
	v_fma_f64 v[88:89], v[207:208], s[12:13], v[203:204]
	s_delay_alu instid0(VALU_DEP_3) | instskip(NEXT) | instid1(VALU_DEP_2)
	v_add_f64_e32 v[34:35], v[34:35], v[32:33]
	v_add_f64_e32 v[88:89], v[88:89], v[74:75]
	v_mul_f64_e32 v[74:75], s[26:27], v[10:11]
	v_add_f64_e32 v[10:11], v[183:184], v[78:79]
	s_delay_alu instid0(VALU_DEP_2) | instskip(SKIP_1) | instid1(VALU_DEP_3)
	v_fma_f64 v[94:95], v[211:212], s[12:13], -v[74:75]
	v_fma_f64 v[74:75], v[211:212], s[12:13], v[74:75]
	v_add_f64_e32 v[10:11], v[10:11], v[84:85]
	s_delay_alu instid0(VALU_DEP_3) | instskip(SKIP_1) | instid1(VALU_DEP_4)
	v_add_f64_e32 v[86:87], v[94:95], v[86:87]
	v_fma_f64 v[94:95], v[187:188], s[2:3], -v[205:206]
	v_add_f64_e32 v[32:33], v[74:75], v[66:67]
	v_fma_f64 v[66:67], v[187:188], s[14:15], v[225:226]
	v_add_f64_e32 v[10:11], v[10:11], v[58:59]
	s_delay_alu instid0(VALU_DEP_4) | instskip(SKIP_1) | instid1(VALU_DEP_4)
	v_add_f64_e32 v[90:91], v[94:95], v[90:91]
	v_fma_f64 v[94:95], v[189:190], s[2:3], v[209:210]
	v_add_f64_e32 v[66:67], v[66:67], v[134:135]
	s_delay_alu instid0(VALU_DEP_4) | instskip(NEXT) | instid1(VALU_DEP_3)
	v_add_f64_e32 v[10:11], v[10:11], v[114:115]
	v_add_f64_e32 v[92:93], v[94:95], v[92:93]
	v_fma_f64 v[94:95], v[191:192], s[14:15], -v[213:214]
	s_delay_alu instid0(VALU_DEP_3) | instskip(NEXT) | instid1(VALU_DEP_2)
	v_add_f64_e32 v[10:11], v[10:11], v[177:178]
	v_add_f64_e32 v[90:91], v[94:95], v[90:91]
	v_fma_f64 v[94:95], v[193:194], s[14:15], v[215:216]
	s_delay_alu instid0(VALU_DEP_3) | instskip(NEXT) | instid1(VALU_DEP_2)
	v_add_f64_e32 v[10:11], v[10:11], v[104:105]
	v_add_f64_e32 v[92:93], v[94:95], v[92:93]
	v_fma_f64 v[94:95], v[195:196], s[8:9], -v[217:218]
	s_delay_alu instid0(VALU_DEP_3) | instskip(NEXT) | instid1(VALU_DEP_2)
	v_add_f64_e32 v[10:11], v[10:11], v[44:45]
	v_add_f64_e32 v[90:91], v[94:95], v[90:91]
	v_fma_f64 v[94:95], v[197:198], s[8:9], v[219:220]
	s_delay_alu instid0(VALU_DEP_3) | instskip(NEXT) | instid1(VALU_DEP_2)
	;; [unrolled: 8-line block ×3, first 2 shown]
	v_add_f64_e32 v[40:41], v[10:11], v[40:41]
	v_add_f64_e32 v[94:95], v[94:95], v[92:93]
	v_fma_f64 v[92:93], v[207:208], s[22:23], -v[24:25]
	v_fma_f64 v[24:25], v[207:208], s[22:23], v[24:25]
	s_delay_alu instid0(VALU_DEP_2) | instskip(SKIP_1) | instid1(VALU_DEP_1)
	v_add_f64_e32 v[92:93], v[92:93], v[90:91]
	v_fma_f64 v[90:91], v[211:212], s[22:23], v[26:27]
	v_add_f64_e32 v[90:91], v[90:91], v[94:95]
	v_fma_f64 v[94:95], v[187:188], s[14:15], -v[225:226]
	s_delay_alu instid0(VALU_DEP_1) | instskip(SKIP_2) | instid1(VALU_DEP_2)
	v_add_f64_e32 v[94:95], v[94:95], v[174:175]
	v_mul_f64_e32 v[174:175], s[18:19], v[20:21]
	v_mul_f64_e32 v[20:21], s[30:31], v[20:21]
	v_fma_f64 v[96:97], v[189:190], s[14:15], v[174:175]
	v_fma_f64 v[74:75], v[189:190], s[14:15], -v[174:175]
	s_delay_alu instid0(VALU_DEP_2) | instskip(SKIP_2) | instid1(VALU_DEP_3)
	v_add_f64_e32 v[96:97], v[96:97], v[154:155]
	s_wait_alu 0xfffe
	v_mul_f64_e32 v[154:155], s[24:25], v[18:19]
	v_add_f64_e32 v[74:75], v[74:75], v[172:173]
	v_mul_f64_e32 v[18:19], s[28:29], v[18:19]
	s_delay_alu instid0(VALU_DEP_3) | instskip(SKIP_1) | instid1(VALU_DEP_2)
	v_fma_f64 v[227:228], v[191:192], s[2:3], -v[154:155]
	v_fma_f64 v[98:99], v[191:192], s[2:3], v[154:155]
	v_add_f64_e32 v[94:95], v[227:228], v[94:95]
	v_mul_f64_e32 v[227:228], s[24:25], v[16:17]
	s_delay_alu instid0(VALU_DEP_3) | instskip(SKIP_1) | instid1(VALU_DEP_3)
	v_add_f64_e32 v[66:67], v[98:99], v[66:67]
	v_mul_f64_e32 v[16:17], s[28:29], v[16:17]
	v_fma_f64 v[229:230], v[193:194], s[2:3], v[227:228]
	v_fma_f64 v[98:99], v[193:194], s[2:3], -v[227:228]
	s_delay_alu instid0(VALU_DEP_2) | instskip(SKIP_2) | instid1(VALU_DEP_4)
	v_add_f64_e32 v[96:97], v[229:230], v[96:97]
	v_fma_f64 v[229:230], v[195:196], s[22:23], -v[28:29]
	v_fma_f64 v[28:29], v[195:196], s[22:23], v[28:29]
	v_add_f64_e32 v[74:75], v[98:99], v[74:75]
	v_fma_f64 v[98:99], v[191:192], s[14:15], v[213:214]
	s_delay_alu instid0(VALU_DEP_4) | instskip(SKIP_3) | instid1(VALU_DEP_3)
	v_add_f64_e32 v[94:95], v[229:230], v[94:95]
	v_fma_f64 v[229:230], v[197:198], s[22:23], v[30:31]
	v_add_f64_e32 v[28:29], v[28:29], v[66:67]
	v_fma_f64 v[30:31], v[197:198], s[22:23], -v[30:31]
	v_add_f64_e32 v[96:97], v[229:230], v[96:97]
	v_mul_f64_e32 v[229:230], s[30:31], v[8:9]
	s_delay_alu instid0(VALU_DEP_3) | instskip(SKIP_1) | instid1(VALU_DEP_3)
	v_add_f64_e32 v[30:31], v[30:31], v[74:75]
	v_fma_f64 v[74:75], v[211:212], s[8:9], -v[237:238]
	v_fma_f64 v[231:232], v[199:200], s[12:13], -v[229:230]
	v_fma_f64 v[66:67], v[199:200], s[12:13], v[229:230]
	s_delay_alu instid0(VALU_DEP_2) | instskip(SKIP_1) | instid1(VALU_DEP_3)
	v_add_f64_e32 v[94:95], v[231:232], v[94:95]
	v_mul_f64_e32 v[231:232], s[30:31], v[4:5]
	v_add_f64_e32 v[28:29], v[66:67], v[28:29]
	s_delay_alu instid0(VALU_DEP_2) | instskip(SKIP_1) | instid1(VALU_DEP_2)
	v_fma_f64 v[66:67], v[201:202], s[12:13], -v[231:232]
	v_fma_f64 v[233:234], v[201:202], s[12:13], v[231:232]
	v_add_f64_e32 v[66:67], v[66:67], v[30:31]
	v_fma_f64 v[30:31], v[207:208], s[8:9], v[235:236]
	s_delay_alu instid0(VALU_DEP_3) | instskip(SKIP_1) | instid1(VALU_DEP_3)
	v_add_f64_e32 v[233:234], v[233:234], v[96:97]
	v_fma_f64 v[96:97], v[207:208], s[8:9], -v[235:236]
	v_add_f64_e32 v[30:31], v[30:31], v[28:29]
	v_add_f64_e32 v[28:29], v[74:75], v[66:67]
	v_fma_f64 v[66:67], v[187:188], s[2:3], v[205:206]
	v_fma_f64 v[74:75], v[189:190], s[2:3], -v[209:210]
	v_add_f64_e32 v[96:97], v[96:97], v[94:95]
	v_fma_f64 v[94:95], v[211:212], s[8:9], v[237:238]
	s_delay_alu instid0(VALU_DEP_4) | instskip(NEXT) | instid1(VALU_DEP_4)
	v_add_f64_e32 v[66:67], v[66:67], v[136:137]
	v_add_f64_e32 v[74:75], v[74:75], v[179:180]
	s_delay_alu instid0(VALU_DEP_3) | instskip(NEXT) | instid1(VALU_DEP_3)
	v_add_f64_e32 v[94:95], v[94:95], v[233:234]
	v_add_f64_e32 v[66:67], v[98:99], v[66:67]
	v_fma_f64 v[98:99], v[193:194], s[14:15], -v[215:216]
	s_delay_alu instid0(VALU_DEP_1) | instskip(SKIP_1) | instid1(VALU_DEP_1)
	v_add_f64_e32 v[74:75], v[98:99], v[74:75]
	v_fma_f64 v[98:99], v[195:196], s[8:9], v[217:218]
	v_add_f64_e32 v[66:67], v[98:99], v[66:67]
	v_fma_f64 v[98:99], v[197:198], s[8:9], -v[219:220]
	s_delay_alu instid0(VALU_DEP_1) | instskip(SKIP_1) | instid1(VALU_DEP_1)
	v_add_f64_e32 v[74:75], v[98:99], v[74:75]
	v_fma_f64 v[98:99], v[199:200], s[10:11], v[221:222]
	v_add_f64_e32 v[66:67], v[98:99], v[66:67]
	v_fma_f64 v[98:99], v[201:202], s[10:11], -v[223:224]
	s_delay_alu instid0(VALU_DEP_1) | instskip(SKIP_1) | instid1(VALU_DEP_4)
	v_add_f64_e32 v[74:75], v[98:99], v[74:75]
	v_fma_f64 v[98:99], v[211:212], s[22:23], -v[26:27]
	v_add_f64_e32 v[26:27], v[24:25], v[66:67]
	v_fma_f64 v[66:67], v[187:188], s[12:13], -v[22:23]
	v_fma_f64 v[22:23], v[187:188], s[12:13], v[22:23]
	s_delay_alu instid0(VALU_DEP_4) | instskip(SKIP_1) | instid1(VALU_DEP_4)
	v_add_f64_e32 v[24:25], v[98:99], v[74:75]
	v_fma_f64 v[74:75], v[189:190], s[12:13], v[20:21]
	v_add_f64_e32 v[66:67], v[66:67], v[164:165]
	v_fma_f64 v[98:99], v[191:192], s[10:11], -v[18:19]
	v_fma_f64 v[20:21], v[189:190], s[12:13], -v[20:21]
	v_fma_f64 v[18:19], v[191:192], s[10:11], v[18:19]
	v_add_f64_e32 v[22:23], v[22:23], v[138:139]
	v_add_f64_e32 v[74:75], v[74:75], v[181:182]
	v_add_f64_e32 v[66:67], v[98:99], v[66:67]
	v_fma_f64 v[98:99], v[193:194], s[10:11], v[16:17]
	v_fma_f64 v[16:17], v[193:194], s[10:11], -v[16:17]
	v_add_f64_e32 v[20:21], v[20:21], v[185:186]
	v_add_f64_e32 v[18:19], v[18:19], v[22:23]
	s_delay_alu instid0(VALU_DEP_4) | instskip(SKIP_3) | instid1(VALU_DEP_3)
	v_add_f64_e32 v[74:75], v[98:99], v[74:75]
	v_fma_f64 v[98:99], v[195:196], s[2:3], -v[14:15]
	v_fma_f64 v[14:15], v[195:196], s[2:3], v[14:15]
	v_add_f64_e32 v[16:17], v[16:17], v[20:21]
	v_add_f64_e32 v[66:67], v[98:99], v[66:67]
	v_fma_f64 v[98:99], v[197:198], s[2:3], v[12:13]
	v_fma_f64 v[12:13], v[197:198], s[2:3], -v[12:13]
	v_add_f64_e32 v[14:15], v[14:15], v[18:19]
	v_fma_f64 v[18:19], v[211:212], s[14:15], -v[132:133]
	s_delay_alu instid0(VALU_DEP_4) | instskip(SKIP_2) | instid1(VALU_DEP_2)
	v_add_f64_e32 v[74:75], v[98:99], v[74:75]
	v_mul_f64_e32 v[98:99], s[16:17], v[8:9]
	v_add_f64_e32 v[12:13], v[12:13], v[16:17]
	v_fma_f64 v[8:9], v[199:200], s[8:9], -v[98:99]
	v_fma_f64 v[20:21], v[199:200], s[8:9], v[98:99]
	s_delay_alu instid0(VALU_DEP_2) | instskip(SKIP_1) | instid1(VALU_DEP_3)
	v_add_f64_e32 v[8:9], v[8:9], v[66:67]
	v_mul_f64_e32 v[66:67], s[16:17], v[4:5]
	v_add_f64_e32 v[14:15], v[20:21], v[14:15]
	s_delay_alu instid0(VALU_DEP_2) | instskip(SKIP_1) | instid1(VALU_DEP_2)
	v_fma_f64 v[4:5], v[201:202], s[8:9], v[66:67]
	v_fma_f64 v[22:23], v[201:202], s[8:9], -v[66:67]
	v_add_f64_e32 v[4:5], v[4:5], v[74:75]
	v_mul_f64_e32 v[74:75], s[18:19], v[6:7]
	s_delay_alu instid0(VALU_DEP_3) | instskip(NEXT) | instid1(VALU_DEP_2)
	v_add_f64_e32 v[12:13], v[22:23], v[12:13]
	v_fma_f64 v[6:7], v[207:208], s[14:15], -v[74:75]
	v_fma_f64 v[16:17], v[207:208], s[14:15], v[74:75]
	s_delay_alu instid0(VALU_DEP_3) | instskip(NEXT) | instid1(VALU_DEP_3)
	v_add_f64_e32 v[12:13], v[18:19], v[12:13]
	v_add_f64_e32 v[6:7], v[6:7], v[8:9]
	v_fma_f64 v[8:9], v[211:212], s[14:15], v[132:133]
	s_delay_alu instid0(VALU_DEP_4)
	v_add_f64_e32 v[14:15], v[16:17], v[14:15]
	s_clause 0x1
	scratch_load_b32 v16, off, off offset:192 th:TH_LOAD_LU
	scratch_load_b32 v17, off, off offset:156 th:TH_LOAD_LU
	v_add_f64_e32 v[4:5], v[8:9], v[4:5]
	v_add_f64_e32 v[8:9], v[166:167], v[68:69]
	s_delay_alu instid0(VALU_DEP_1) | instskip(NEXT) | instid1(VALU_DEP_1)
	v_add_f64_e32 v[8:9], v[8:9], v[76:77]
	v_add_f64_e32 v[8:9], v[8:9], v[60:61]
	s_delay_alu instid0(VALU_DEP_1) | instskip(NEXT) | instid1(VALU_DEP_1)
	v_add_f64_e32 v[8:9], v[8:9], v[56:57]
	v_add_f64_e32 v[8:9], v[8:9], v[106:107]
	s_delay_alu instid0(VALU_DEP_1) | instskip(NEXT) | instid1(VALU_DEP_1)
	v_add_f64_e32 v[8:9], v[8:9], v[112:113]
	v_add_f64_e32 v[8:9], v[8:9], v[46:47]
	s_delay_alu instid0(VALU_DEP_1) | instskip(SKIP_3) | instid1(VALU_DEP_1)
	v_add_f64_e32 v[8:9], v[8:9], v[54:55]
	s_wait_loadcnt 0x1
	v_mul_u32_u24_e32 v16, 0x75, v16
	s_wait_loadcnt 0x0
	v_add_lshl_u32 v16, v16, v17, 4
	s_delay_alu instid0(VALU_DEP_3) | instskip(NEXT) | instid1(VALU_DEP_1)
	v_add_f64_e32 v[8:9], v[8:9], v[50:51]
	v_add_f64_e32 v[8:9], v[8:9], v[62:63]
	s_delay_alu instid0(VALU_DEP_1)
	v_add_f64_e32 v[10:11], v[8:9], v[64:65]
	v_add_f64_e32 v[8:9], v[40:41], v[42:43]
	ds_store_b128 v16, v[90:93] offset:288
	ds_store_b128 v16, v[94:97] offset:432
	;; [unrolled: 1-line block ×11, first 2 shown]
	ds_store_b128 v16, v[8:11]
	ds_store_b128 v16, v[12:15] offset:1728
.LBB0_9:
	s_or_b32 exec_lo, exec_lo, s33
	global_wb scope:SCOPE_SE
	s_wait_dscnt 0x0
	s_barrier_signal -1
	s_barrier_wait -1
	global_inv scope:SCOPE_SE
	ds_load_b128 v[0:3], v255 offset:5616
	ds_load_b128 v[4:7], v255 offset:11232
	;; [unrolled: 1-line block ×7, first 2 shown]
	s_mov_b32 s2, 0xe8584caa
	s_mov_b32 s3, 0xbfebb67a
	;; [unrolled: 1-line block ×3, first 2 shown]
	s_wait_alu 0xfffe
	s_mov_b32 s8, s2
	s_wait_dscnt 0x6
	v_mul_f64_e32 v[28:29], v[102:103], v[2:3]
	s_wait_dscnt 0x5
	v_mul_f64_e32 v[30:31], v[110:111], v[6:7]
	v_mul_f64_e32 v[32:33], v[102:103], v[0:1]
	v_mul_f64_e32 v[34:35], v[110:111], v[4:5]
	s_wait_dscnt 0x4
	v_mul_f64_e32 v[36:37], v[102:103], v[10:11]
	s_wait_dscnt 0x3
	v_mul_f64_e32 v[38:39], v[110:111], v[14:15]
	v_mul_f64_e32 v[40:41], v[102:103], v[8:9]
	v_mul_f64_e32 v[42:43], v[110:111], v[12:13]
	;; [unrolled: 6-line block ×3, first 2 shown]
	v_fma_f64 v[28:29], v[100:101], v[0:1], v[28:29]
	v_fma_f64 v[30:31], v[108:109], v[4:5], v[30:31]
	v_fma_f64 v[32:33], v[100:101], v[2:3], -v[32:33]
	v_fma_f64 v[34:35], v[108:109], v[6:7], -v[34:35]
	v_fma_f64 v[8:9], v[100:101], v[8:9], v[36:37]
	v_fma_f64 v[12:13], v[108:109], v[12:13], v[38:39]
	v_fma_f64 v[10:11], v[100:101], v[10:11], -v[40:41]
	v_fma_f64 v[14:15], v[108:109], v[14:15], -v[42:43]
	;; [unrolled: 4-line block ×3, first 2 shown]
	ds_load_b128 v[0:3], v255
	ds_load_b128 v[4:7], v255 offset:1872
	global_wb scope:SCOPE_SE
	s_wait_dscnt 0x0
	s_barrier_signal -1
	s_barrier_wait -1
	global_inv scope:SCOPE_SE
	v_add_f64_e32 v[48:49], v[0:1], v[28:29]
	v_add_f64_e32 v[36:37], v[28:29], v[30:31]
	v_add_f64_e64 v[28:29], v[28:29], -v[30:31]
	v_add_f64_e32 v[38:39], v[32:33], v[34:35]
	v_add_f64_e64 v[50:51], v[32:33], -v[34:35]
	v_add_f64_e32 v[40:41], v[8:9], v[12:13]
	v_add_f64_e32 v[32:33], v[2:3], v[32:33]
	;; [unrolled: 1-line block ×9, first 2 shown]
	v_add_f64_e64 v[60:61], v[10:11], -v[14:15]
	v_add_f64_e64 v[62:63], v[8:9], -v[12:13]
	v_add_f64_e64 v[64:65], v[18:19], -v[22:23]
	v_add_f64_e64 v[66:67], v[16:17], -v[20:21]
	v_fma_f64 v[36:37], v[36:37], -0.5, v[0:1]
	v_add_f64_e32 v[0:1], v[48:49], v[30:31]
	v_fma_f64 v[38:39], v[38:39], -0.5, v[2:3]
	v_fma_f64 v[40:41], v[40:41], -0.5, v[4:5]
	v_add_f64_e32 v[2:3], v[32:33], v[34:35]
	v_fma_f64 v[42:43], v[42:43], -0.5, v[6:7]
	v_add_f64_e32 v[4:5], v[52:53], v[12:13]
	;; [unrolled: 2-line block ×4, first 2 shown]
	v_add_f64_e32 v[10:11], v[58:59], v[22:23]
	v_fma_f64 v[12:13], v[50:51], s[2:3], v[36:37]
	s_wait_alu 0xfffe
	v_fma_f64 v[16:17], v[50:51], s[8:9], v[36:37]
	v_fma_f64 v[14:15], v[28:29], s[8:9], v[38:39]
	;; [unrolled: 1-line block ×11, first 2 shown]
	ds_store_b128 v255, v[0:3]
	ds_store_b128 v255, v[12:15] offset:1872
	ds_store_b128 v255, v[16:19] offset:3744
	;; [unrolled: 1-line block ×8, first 2 shown]
	global_wb scope:SCOPE_SE
	s_wait_dscnt 0x0
	s_barrier_signal -1
	s_barrier_wait -1
	global_inv scope:SCOPE_SE
	ds_load_b128 v[0:3], v255 offset:5616
	ds_load_b128 v[4:7], v255 offset:11232
	;; [unrolled: 1-line block ×7, first 2 shown]
	s_wait_dscnt 0x6
	v_mul_f64_e32 v[28:29], v[118:119], v[2:3]
	s_wait_dscnt 0x5
	v_mul_f64_e32 v[30:31], v[130:131], v[6:7]
	v_mul_f64_e32 v[32:33], v[118:119], v[0:1]
	v_mul_f64_e32 v[34:35], v[130:131], v[4:5]
	s_wait_dscnt 0x4
	v_mul_f64_e32 v[36:37], v[150:151], v[10:11]
	s_wait_dscnt 0x3
	v_mul_f64_e32 v[38:39], v[146:147], v[14:15]
	v_mul_f64_e32 v[40:41], v[150:151], v[8:9]
	v_mul_f64_e32 v[42:43], v[146:147], v[12:13]
	;; [unrolled: 6-line block ×3, first 2 shown]
	v_fma_f64 v[28:29], v[116:117], v[0:1], v[28:29]
	v_fma_f64 v[30:31], v[128:129], v[4:5], v[30:31]
	v_fma_f64 v[32:33], v[116:117], v[2:3], -v[32:33]
	v_fma_f64 v[34:35], v[128:129], v[6:7], -v[34:35]
	v_fma_f64 v[8:9], v[148:149], v[8:9], v[36:37]
	v_fma_f64 v[12:13], v[144:145], v[12:13], v[38:39]
	v_fma_f64 v[10:11], v[148:149], v[10:11], -v[40:41]
	v_fma_f64 v[14:15], v[144:145], v[14:15], -v[42:43]
	;; [unrolled: 4-line block ×3, first 2 shown]
	ds_load_b128 v[0:3], v255
	ds_load_b128 v[4:7], v255 offset:1872
	s_wait_dscnt 0x1
	v_add_f64_e32 v[48:49], v[0:1], v[28:29]
	v_add_f64_e32 v[36:37], v[28:29], v[30:31]
	v_add_f64_e64 v[28:29], v[28:29], -v[30:31]
	v_add_f64_e32 v[38:39], v[32:33], v[34:35]
	v_add_f64_e64 v[50:51], v[32:33], -v[34:35]
	v_add_f64_e32 v[40:41], v[8:9], v[12:13]
	v_add_f64_e32 v[32:33], v[2:3], v[32:33]
	;; [unrolled: 1-line block ×3, first 2 shown]
	s_wait_dscnt 0x0
	v_add_f64_e32 v[52:53], v[4:5], v[8:9]
	v_add_f64_e32 v[44:45], v[16:17], v[20:21]
	;; [unrolled: 1-line block ×4, first 2 shown]
	v_add_f64_e64 v[60:61], v[10:11], -v[14:15]
	v_add_f64_e64 v[62:63], v[8:9], -v[12:13]
	v_add_f64_e32 v[56:57], v[24:25], v[16:17]
	v_add_f64_e32 v[58:59], v[26:27], v[18:19]
	v_add_f64_e64 v[64:65], v[18:19], -v[22:23]
	v_add_f64_e64 v[66:67], v[16:17], -v[20:21]
	v_fma_f64 v[36:37], v[36:37], -0.5, v[0:1]
	v_add_f64_e32 v[0:1], v[48:49], v[30:31]
	v_fma_f64 v[38:39], v[38:39], -0.5, v[2:3]
	v_fma_f64 v[40:41], v[40:41], -0.5, v[4:5]
	v_add_f64_e32 v[2:3], v[32:33], v[34:35]
	v_fma_f64 v[42:43], v[42:43], -0.5, v[6:7]
	v_add_f64_e32 v[4:5], v[52:53], v[12:13]
	;; [unrolled: 2-line block ×4, first 2 shown]
	v_add_f64_e32 v[10:11], v[58:59], v[22:23]
	v_fma_f64 v[16:17], v[50:51], s[8:9], v[36:37]
	v_fma_f64 v[12:13], v[50:51], s[2:3], v[36:37]
	;; [unrolled: 1-line block ×12, first 2 shown]
	v_mad_co_u64_u32 v[38:39], null, s4, v239, 0
	s_mul_i32 s2, s5, 0xffffdb70
	ds_store_b128 v255, v[0:3]
	ds_store_b128 v255, v[4:7] offset:1872
	ds_store_b128 v255, v[16:19] offset:11232
	;; [unrolled: 1-line block ×8, first 2 shown]
	global_wb scope:SCOPE_SE
	s_wait_dscnt 0x0
	s_barrier_signal -1
	s_barrier_wait -1
	global_inv scope:SCOPE_SE
	scratch_load_b64 v[4:5], off, off th:TH_LOAD_LU ; 8-byte Folded Reload
	ds_load_b128 v[0:3], v255
	s_wait_loadcnt 0x0
	v_mov_b32_e32 v40, v4
	ds_load_b128 v[4:7], v255 offset:5616
	ds_load_b128 v[8:11], v255 offset:11232
	;; [unrolled: 1-line block ×8, first 2 shown]
	s_clause 0x1
	scratch_load_b128 v[86:89], off, off offset:44 th:TH_LOAD_LU
	scratch_load_b128 v[94:97], off, off offset:92 th:TH_LOAD_LU
	v_mad_co_u64_u32 v[36:37], null, s6, v40, 0
	s_clause 0x2
	scratch_load_b128 v[98:101], off, off offset:108 th:TH_LOAD_LU
	scratch_load_b128 v[82:85], off, off offset:28 th:TH_LOAD_LU
	;; [unrolled: 1-line block ×3, first 2 shown]
	v_mad_co_u64_u32 v[40:41], null, s7, v40, v[37:38]
	s_delay_alu instid0(VALU_DEP_1) | instskip(SKIP_1) | instid1(VALU_DEP_1)
	v_mad_co_u64_u32 v[41:42], null, s5, v239, v[39:40]
	v_mov_b32_e32 v37, v40
	v_lshlrev_b64_e32 v[36:37], 4, v[36:37]
	s_delay_alu instid0(VALU_DEP_3) | instskip(NEXT) | instid1(VALU_DEP_1)
	v_mov_b32_e32 v39, v41
	v_lshlrev_b64_e32 v[38:39], 4, v[38:39]
	s_delay_alu instid0(VALU_DEP_3) | instskip(SKIP_1) | instid1(VALU_DEP_4)
	v_add_co_u32 v36, vcc_lo, s0, v36
	s_wait_alu 0xfffd
	v_add_co_ci_u32_e32 v37, vcc_lo, s1, v37, vcc_lo
	s_mul_u64 s[0:1], s[4:5], 0x15f0
	s_delay_alu instid0(VALU_DEP_2) | instskip(SKIP_1) | instid1(VALU_DEP_2)
	v_add_co_u32 v36, vcc_lo, v36, v38
	s_wait_alu 0xfffd
	v_add_co_ci_u32_e32 v37, vcc_lo, v37, v39, vcc_lo
	s_wait_alu 0xfffe
	s_sub_co_i32 s5, s2, s4
	v_add_co_u32 v38, vcc_lo, v36, s0
	s_wait_alu 0xfffd
	v_add_co_ci_u32_e32 v39, vcc_lo, s1, v37, vcc_lo
	s_mov_b32 s2, 0xad57473c
	s_delay_alu instid0(VALU_DEP_2) | instskip(SKIP_1) | instid1(VALU_DEP_2)
	v_add_co_u32 v40, vcc_lo, v38, s0
	s_wait_alu 0xfffd
	v_add_co_ci_u32_e32 v41, vcc_lo, s1, v39, vcc_lo
	s_mov_b32 s3, 0x3f4f1e63
	s_wait_loadcnt_dscnt 0x408
	v_mul_f64_e32 v[42:43], v[88:89], v[2:3]
	v_mul_f64_e32 v[44:45], v[88:89], v[0:1]
	scratch_load_b128 v[88:91], off, off offset:60 th:TH_LOAD_LU ; 16-byte Folded Reload
	s_wait_loadcnt_dscnt 0x406
	v_mul_f64_e32 v[50:51], v[96:97], v[10:11]
	s_wait_loadcnt 0x3
	v_mul_f64_e32 v[46:47], v[100:101], v[6:7]
	v_mul_f64_e32 v[48:49], v[100:101], v[4:5]
	;; [unrolled: 1-line block ×3, first 2 shown]
	s_wait_loadcnt_dscnt 0x205
	v_mul_f64_e32 v[54:55], v[84:85], v[14:15]
	v_mul_f64_e32 v[56:57], v[84:85], v[12:13]
	s_wait_loadcnt_dscnt 0x104
	v_mul_f64_e32 v[58:59], v[80:81], v[18:19]
	v_mul_f64_e32 v[60:61], v[80:81], v[16:17]
	scratch_load_b128 v[100:103], off, off offset:124 th:TH_LOAD_LU ; 16-byte Folded Reload
	v_fma_f64 v[0:1], v[86:87], v[0:1], v[42:43]
	v_fma_f64 v[2:3], v[86:87], v[2:3], -v[44:45]
	v_mad_co_u64_u32 v[42:43], null, 0xffffdb70, s4, v[40:41]
	v_fma_f64 v[4:5], v[98:99], v[4:5], v[46:47]
	v_fma_f64 v[6:7], v[98:99], v[6:7], -v[48:49]
	v_fma_f64 v[8:9], v[94:95], v[8:9], v[50:51]
	v_fma_f64 v[10:11], v[94:95], v[10:11], -v[52:53]
	;; [unrolled: 2-line block ×4, first 2 shown]
	s_wait_alu 0xfffe
	v_add_nc_u32_e32 v43, s5, v43
	v_add_co_u32 v44, vcc_lo, v42, s0
	s_wait_alu 0xfffd
	s_delay_alu instid0(VALU_DEP_2) | instskip(NEXT) | instid1(VALU_DEP_2)
	v_add_co_ci_u32_e32 v45, vcc_lo, s1, v43, vcc_lo
	v_add_co_u32 v46, vcc_lo, v44, s0
	s_wait_alu 0xfffd
	s_delay_alu instid0(VALU_DEP_2) | instskip(NEXT) | instid1(VALU_DEP_1)
	v_add_co_ci_u32_e32 v47, vcc_lo, s1, v45, vcc_lo
	v_mad_co_u64_u32 v[48:49], null, 0xffffdb70, s4, v[46:47]
	s_delay_alu instid0(VALU_DEP_1) | instskip(NEXT) | instid1(VALU_DEP_2)
	v_add_nc_u32_e32 v49, s5, v49
	v_add_co_u32 v50, vcc_lo, v48, s0
	v_mul_f64_e32 v[0:1], s[2:3], v[0:1]
	v_mul_f64_e32 v[2:3], s[2:3], v[2:3]
	s_wait_alu 0xfffd
	v_add_co_ci_u32_e32 v51, vcc_lo, s1, v49, vcc_lo
	v_mul_f64_e32 v[4:5], s[2:3], v[4:5]
	v_mul_f64_e32 v[6:7], s[2:3], v[6:7]
	;; [unrolled: 1-line block ×8, first 2 shown]
	v_add_co_u32 v52, vcc_lo, v50, s0
	s_wait_alu 0xfffd
	v_add_co_ci_u32_e32 v53, vcc_lo, s1, v51, vcc_lo
	s_wait_loadcnt_dscnt 0x103
	v_mul_f64_e32 v[62:63], v[90:91], v[22:23]
	v_mul_f64_e32 v[64:65], v[90:91], v[20:21]
	scratch_load_b128 v[90:93], off, off offset:76 th:TH_LOAD_LU ; 16-byte Folded Reload
	s_wait_loadcnt_dscnt 0x101
	v_mul_f64_e32 v[70:71], v[102:103], v[30:31]
	v_mul_f64_e32 v[72:73], v[102:103], v[28:29]
	scratch_load_b128 v[102:105], off, off offset:140 th:TH_LOAD_LU ; 16-byte Folded Reload
	v_fma_f64 v[20:21], v[88:89], v[20:21], v[62:63]
	v_fma_f64 v[22:23], v[88:89], v[22:23], -v[64:65]
	v_fma_f64 v[28:29], v[100:101], v[28:29], v[70:71]
	v_fma_f64 v[30:31], v[100:101], v[30:31], -v[72:73]
	s_delay_alu instid0(VALU_DEP_4) | instskip(NEXT) | instid1(VALU_DEP_4)
	v_mul_f64_e32 v[20:21], s[2:3], v[20:21]
	v_mul_f64_e32 v[22:23], s[2:3], v[22:23]
	s_delay_alu instid0(VALU_DEP_4) | instskip(NEXT) | instid1(VALU_DEP_4)
	v_mul_f64_e32 v[28:29], s[2:3], v[28:29]
	v_mul_f64_e32 v[30:31], s[2:3], v[30:31]
	s_wait_loadcnt 0x1
	v_mul_f64_e32 v[66:67], v[92:93], v[26:27]
	v_mul_f64_e32 v[68:69], v[92:93], v[24:25]
	s_wait_loadcnt_dscnt 0x0
	v_mul_f64_e32 v[74:75], v[104:105], v[34:35]
	v_mul_f64_e32 v[76:77], v[104:105], v[32:33]
	s_delay_alu instid0(VALU_DEP_4) | instskip(NEXT) | instid1(VALU_DEP_4)
	v_fma_f64 v[24:25], v[90:91], v[24:25], v[66:67]
	v_fma_f64 v[26:27], v[90:91], v[26:27], -v[68:69]
	s_delay_alu instid0(VALU_DEP_4) | instskip(NEXT) | instid1(VALU_DEP_4)
	v_fma_f64 v[32:33], v[102:103], v[32:33], v[74:75]
	v_fma_f64 v[34:35], v[102:103], v[34:35], -v[76:77]
	s_delay_alu instid0(VALU_DEP_4) | instskip(NEXT) | instid1(VALU_DEP_4)
	v_mul_f64_e32 v[24:25], s[2:3], v[24:25]
	v_mul_f64_e32 v[26:27], s[2:3], v[26:27]
	s_delay_alu instid0(VALU_DEP_4) | instskip(NEXT) | instid1(VALU_DEP_4)
	v_mul_f64_e32 v[32:33], s[2:3], v[32:33]
	v_mul_f64_e32 v[34:35], s[2:3], v[34:35]
	s_clause 0x4
	global_store_b128 v[36:37], v[0:3], off
	global_store_b128 v[38:39], v[4:7], off
	;; [unrolled: 1-line block ×9, first 2 shown]
.LBB0_10:
	s_nop 0
	s_sendmsg sendmsg(MSG_DEALLOC_VGPRS)
	s_endpgm
	.section	.rodata,"a",@progbits
	.p2align	6, 0x0
	.amdhsa_kernel bluestein_single_back_len1053_dim1_dp_op_CI_CI
		.amdhsa_group_segment_fixed_size 16848
		.amdhsa_private_segment_fixed_size 432
		.amdhsa_kernarg_size 104
		.amdhsa_user_sgpr_count 2
		.amdhsa_user_sgpr_dispatch_ptr 0
		.amdhsa_user_sgpr_queue_ptr 0
		.amdhsa_user_sgpr_kernarg_segment_ptr 1
		.amdhsa_user_sgpr_dispatch_id 0
		.amdhsa_user_sgpr_private_segment_size 0
		.amdhsa_wavefront_size32 1
		.amdhsa_uses_dynamic_stack 0
		.amdhsa_enable_private_segment 1
		.amdhsa_system_sgpr_workgroup_id_x 1
		.amdhsa_system_sgpr_workgroup_id_y 0
		.amdhsa_system_sgpr_workgroup_id_z 0
		.amdhsa_system_sgpr_workgroup_info 0
		.amdhsa_system_vgpr_workitem_id 0
		.amdhsa_next_free_vgpr 256
		.amdhsa_next_free_sgpr 48
		.amdhsa_reserve_vcc 1
		.amdhsa_float_round_mode_32 0
		.amdhsa_float_round_mode_16_64 0
		.amdhsa_float_denorm_mode_32 3
		.amdhsa_float_denorm_mode_16_64 3
		.amdhsa_fp16_overflow 0
		.amdhsa_workgroup_processor_mode 1
		.amdhsa_memory_ordered 1
		.amdhsa_forward_progress 0
		.amdhsa_round_robin_scheduling 0
		.amdhsa_exception_fp_ieee_invalid_op 0
		.amdhsa_exception_fp_denorm_src 0
		.amdhsa_exception_fp_ieee_div_zero 0
		.amdhsa_exception_fp_ieee_overflow 0
		.amdhsa_exception_fp_ieee_underflow 0
		.amdhsa_exception_fp_ieee_inexact 0
		.amdhsa_exception_int_div_zero 0
	.end_amdhsa_kernel
	.text
.Lfunc_end0:
	.size	bluestein_single_back_len1053_dim1_dp_op_CI_CI, .Lfunc_end0-bluestein_single_back_len1053_dim1_dp_op_CI_CI
                                        ; -- End function
	.section	.AMDGPU.csdata,"",@progbits
; Kernel info:
; codeLenInByte = 17032
; NumSgprs: 50
; NumVgprs: 256
; ScratchSize: 432
; MemoryBound: 0
; FloatMode: 240
; IeeeMode: 1
; LDSByteSize: 16848 bytes/workgroup (compile time only)
; SGPRBlocks: 6
; VGPRBlocks: 31
; NumSGPRsForWavesPerEU: 50
; NumVGPRsForWavesPerEU: 256
; Occupancy: 5
; WaveLimiterHint : 1
; COMPUTE_PGM_RSRC2:SCRATCH_EN: 1
; COMPUTE_PGM_RSRC2:USER_SGPR: 2
; COMPUTE_PGM_RSRC2:TRAP_HANDLER: 0
; COMPUTE_PGM_RSRC2:TGID_X_EN: 1
; COMPUTE_PGM_RSRC2:TGID_Y_EN: 0
; COMPUTE_PGM_RSRC2:TGID_Z_EN: 0
; COMPUTE_PGM_RSRC2:TIDIG_COMP_CNT: 0
	.text
	.p2alignl 7, 3214868480
	.fill 96, 4, 3214868480
	.type	__hip_cuid_d894270e98586388,@object ; @__hip_cuid_d894270e98586388
	.section	.bss,"aw",@nobits
	.globl	__hip_cuid_d894270e98586388
__hip_cuid_d894270e98586388:
	.byte	0                               ; 0x0
	.size	__hip_cuid_d894270e98586388, 1

	.ident	"AMD clang version 19.0.0git (https://github.com/RadeonOpenCompute/llvm-project roc-6.4.0 25133 c7fe45cf4b819c5991fe208aaa96edf142730f1d)"
	.section	".note.GNU-stack","",@progbits
	.addrsig
	.addrsig_sym __hip_cuid_d894270e98586388
	.amdgpu_metadata
---
amdhsa.kernels:
  - .args:
      - .actual_access:  read_only
        .address_space:  global
        .offset:         0
        .size:           8
        .value_kind:     global_buffer
      - .actual_access:  read_only
        .address_space:  global
        .offset:         8
        .size:           8
        .value_kind:     global_buffer
      - .actual_access:  read_only
        .address_space:  global
        .offset:         16
        .size:           8
        .value_kind:     global_buffer
      - .actual_access:  read_only
        .address_space:  global
        .offset:         24
        .size:           8
        .value_kind:     global_buffer
      - .actual_access:  read_only
        .address_space:  global
        .offset:         32
        .size:           8
        .value_kind:     global_buffer
      - .offset:         40
        .size:           8
        .value_kind:     by_value
      - .address_space:  global
        .offset:         48
        .size:           8
        .value_kind:     global_buffer
      - .address_space:  global
        .offset:         56
        .size:           8
        .value_kind:     global_buffer
      - .address_space:  global
        .offset:         64
        .size:           8
        .value_kind:     global_buffer
      - .address_space:  global
        .offset:         72
        .size:           8
        .value_kind:     global_buffer
      - .offset:         80
        .size:           4
        .value_kind:     by_value
      - .address_space:  global
        .offset:         88
        .size:           8
        .value_kind:     global_buffer
      - .address_space:  global
        .offset:         96
        .size:           8
        .value_kind:     global_buffer
    .group_segment_fixed_size: 16848
    .kernarg_segment_align: 8
    .kernarg_segment_size: 104
    .language:       OpenCL C
    .language_version:
      - 2
      - 0
    .max_flat_workgroup_size: 117
    .name:           bluestein_single_back_len1053_dim1_dp_op_CI_CI
    .private_segment_fixed_size: 432
    .sgpr_count:     50
    .sgpr_spill_count: 0
    .symbol:         bluestein_single_back_len1053_dim1_dp_op_CI_CI.kd
    .uniform_work_group_size: 1
    .uses_dynamic_stack: false
    .vgpr_count:     256
    .vgpr_spill_count: 107
    .wavefront_size: 32
    .workgroup_processor_mode: 1
amdhsa.target:   amdgcn-amd-amdhsa--gfx1201
amdhsa.version:
  - 1
  - 2
...

	.end_amdgpu_metadata
